;; amdgpu-corpus repo=ROCm/rocFFT kind=compiled arch=gfx1201 opt=O3
	.text
	.amdgcn_target "amdgcn-amd-amdhsa--gfx1201"
	.amdhsa_code_object_version 6
	.protected	fft_rtc_back_len84_factors_2_6_7_wgs_189_tpt_7_dim2_sp_ip_CI_sbcc_twdbase8_3step_dirReg ; -- Begin function fft_rtc_back_len84_factors_2_6_7_wgs_189_tpt_7_dim2_sp_ip_CI_sbcc_twdbase8_3step_dirReg
	.globl	fft_rtc_back_len84_factors_2_6_7_wgs_189_tpt_7_dim2_sp_ip_CI_sbcc_twdbase8_3step_dirReg
	.p2align	8
	.type	fft_rtc_back_len84_factors_2_6_7_wgs_189_tpt_7_dim2_sp_ip_CI_sbcc_twdbase8_3step_dirReg,@function
fft_rtc_back_len84_factors_2_6_7_wgs_189_tpt_7_dim2_sp_ip_CI_sbcc_twdbase8_3step_dirReg: ; @fft_rtc_back_len84_factors_2_6_7_wgs_189_tpt_7_dim2_sp_ip_CI_sbcc_twdbase8_3step_dirReg
; %bb.0:
	s_load_b128 s[4:7], s[0:1], 0x10
	s_mov_b32 s3, 0
	s_mov_b32 s8, 0xd0975000
	;; [unrolled: 1-line block ×4, first 2 shown]
	s_movk_i32 s10, 0xffe5
	s_add_nc_u64 s[8:9], s[2:3], s[8:9]
	s_mov_b32 s11, -1
	s_add_co_i32 s9, s9, 0x97b4240
	s_mov_b32 s18, -1
	s_mul_u64 s[12:13], s[8:9], s[10:11]
	s_delay_alu instid0(SALU_CYCLE_1)
	s_mul_hi_u32 s2, s8, s12
	s_mul_i32 s15, s9, s12
	s_mul_hi_u32 s14, s9, s12
	s_mul_hi_u32 s16, s9, s13
	s_mul_i32 s12, s9, s13
	s_wait_kmcnt 0x0
	s_load_b64 s[10:11], s[4:5], 0x8
	s_mul_hi_u32 s5, s8, s13
	s_mul_i32 s4, s8, s13
	s_delay_alu instid0(SALU_CYCLE_1) | instskip(NEXT) | instid1(SALU_CYCLE_1)
	s_add_nc_u64 s[4:5], s[2:3], s[4:5]
	s_add_co_u32 s2, s4, s15
	s_add_co_ci_u32 s2, s5, s14
	s_add_co_ci_u32 s13, s16, 0
	s_mov_b64 s[16:17], 0
	s_add_nc_u64 s[4:5], s[2:3], s[12:13]
	s_delay_alu instid0(SALU_CYCLE_1) | instskip(NEXT) | instid1(VALU_DEP_1)
	v_add_co_u32 v1, s2, s8, s4
	s_cmp_lg_u32 s2, 0
	s_add_co_ci_u32 s12, s9, s5
	s_delay_alu instid0(VALU_DEP_1)
	v_readfirstlane_b32 s13, v1
	s_wait_kmcnt 0x0
	s_add_nc_u64 s[4:5], s[10:11], -1
	s_wait_alu 0xfffe
	s_mul_hi_u32 s9, s4, s12
	s_mul_i32 s8, s4, s12
	s_mul_hi_u32 s2, s4, s13
	s_mul_hi_u32 s15, s5, s13
	s_mul_i32 s13, s5, s13
	s_wait_alu 0xfffe
	s_add_nc_u64 s[8:9], s[2:3], s[8:9]
	s_mul_hi_u32 s14, s5, s12
	s_wait_alu 0xfffe
	s_add_co_u32 s2, s8, s13
	s_add_co_ci_u32 s2, s9, s15
	s_mul_i32 s12, s5, s12
	s_add_co_ci_u32 s13, s14, 0
	s_delay_alu instid0(SALU_CYCLE_1) | instskip(NEXT) | instid1(SALU_CYCLE_1)
	s_add_nc_u64 s[12:13], s[2:3], s[12:13]
	s_mul_u64 s[8:9], s[12:13], 27
	s_wait_alu 0xfffe
	v_sub_co_u32 v1, s2, s4, s8
	s_delay_alu instid0(VALU_DEP_1) | instskip(SKIP_1) | instid1(VALU_DEP_1)
	s_cmp_lg_u32 s2, 0
	s_sub_co_ci_u32 s14, s5, s9
	v_sub_co_u32 v2, s4, v1, 27
	s_delay_alu instid0(VALU_DEP_1) | instskip(SKIP_2) | instid1(VALU_DEP_2)
	s_cmp_lg_u32 s4, 0
	v_readfirstlane_b32 s15, v1
	s_sub_co_ci_u32 s8, s14, 0
	v_readfirstlane_b32 s2, v2
	s_add_nc_u64 s[4:5], s[12:13], 1
	s_delay_alu instid0(VALU_DEP_1)
	s_cmp_gt_u32 s2, 26
	s_cselect_b32 s2, -1, 0
	s_wait_alu 0xfffe
	s_cmp_eq_u32 s8, 0
	s_add_nc_u64 s[8:9], s[12:13], 2
	s_cselect_b32 s2, s2, -1
	s_delay_alu instid0(SALU_CYCLE_1)
	s_cmp_lg_u32 s2, 0
	s_wait_alu 0xfffe
	s_cselect_b32 s2, s8, s4
	s_cselect_b32 s4, s9, s5
	s_cmp_gt_u32 s15, 26
	s_load_b64 s[8:9], s[6:7], 0x0
	s_cselect_b32 s5, -1, 0
	s_cmp_eq_u32 s14, 0
	s_wait_alu 0xfffe
	s_cselect_b32 s5, s5, -1
	s_wait_alu 0xfffe
	s_cmp_lg_u32 s5, 0
	s_cselect_b32 s5, s4, s13
	s_cselect_b32 s4, s2, s12
	s_mov_b32 s2, ttmp9
	s_wait_alu 0xfffe
	s_add_nc_u64 s[12:13], s[4:5], 1
	s_delay_alu instid0(SALU_CYCLE_1) | instskip(NEXT) | instid1(VALU_DEP_1)
	v_cmp_lt_u64_e64 s4, s[2:3], s[12:13]
	s_and_b32 vcc_lo, exec_lo, s4
	s_cbranch_vccnz .LBB0_2
; %bb.1:
	v_cvt_f32_u32_e32 v1, s12
	s_sub_co_i32 s5, 0, s12
	s_mov_b32 s17, s3
	s_delay_alu instid0(VALU_DEP_1) | instskip(NEXT) | instid1(TRANS32_DEP_1)
	v_rcp_iflag_f32_e32 v1, v1
	v_mul_f32_e32 v1, 0x4f7ffffe, v1
	s_delay_alu instid0(VALU_DEP_1) | instskip(NEXT) | instid1(VALU_DEP_1)
	v_cvt_u32_f32_e32 v1, v1
	v_readfirstlane_b32 s4, v1
	s_wait_alu 0xfffe
	s_delay_alu instid0(VALU_DEP_1)
	s_mul_i32 s5, s5, s4
	s_wait_alu 0xfffe
	s_mul_hi_u32 s5, s4, s5
	s_wait_alu 0xfffe
	s_add_co_i32 s4, s4, s5
	s_wait_alu 0xfffe
	s_mul_hi_u32 s4, s2, s4
	s_wait_alu 0xfffe
	s_mul_i32 s5, s4, s12
	s_add_co_i32 s14, s4, 1
	s_wait_alu 0xfffe
	s_sub_co_i32 s5, s2, s5
	s_wait_alu 0xfffe
	s_sub_co_i32 s15, s5, s12
	s_cmp_ge_u32 s5, s12
	s_cselect_b32 s4, s14, s4
	s_cselect_b32 s5, s15, s5
	s_wait_alu 0xfffe
	s_add_co_i32 s14, s4, 1
	s_cmp_ge_u32 s5, s12
	s_cselect_b32 s16, s14, s4
.LBB0_2:
	v_mul_u32_u24_e32 v1, 0x97c, v0
	s_load_b128 s[4:7], s[6:7], 0x8
	s_mul_u64 s[12:13], s[16:17], s[12:13]
	s_wait_alu 0xfffe
	s_sub_nc_u64 s[2:3], s[2:3], s[12:13]
	v_lshrrev_b32_e32 v86, 16, v1
	s_clause 0x1
	s_load_b64 s[14:15], s[0:1], 0x0
	s_load_b64 s[12:13], s[0:1], 0x50
	s_mul_u64 s[20:21], s[2:3], 27
	s_delay_alu instid0(SALU_CYCLE_1)
	s_add_nc_u64 s[2:3], s[20:21], 27
	v_mul_lo_u16 v1, v86, 27
	s_wait_alu 0xfffe
	v_cmp_gt_u64_e64 s19, s[2:3], s[10:11]
	v_cmp_le_u64_e64 s3, s[2:3], s[10:11]
	v_add_nc_u32_e32 v19, 7, v86
	v_add_nc_u32_e32 v28, 14, v86
	v_sub_nc_u16 v1, v0, v1
	v_add_nc_u32_e32 v29, 28, v86
	s_and_b32 vcc_lo, exec_lo, s19
	s_delay_alu instid0(VALU_DEP_2) | instskip(SKIP_3) | instid1(SALU_CYCLE_1)
	v_and_b32_e32 v88, 0xffff, v1
	s_wait_kmcnt 0x0
	s_mul_u64 s[22:23], s[20:21], s[4:5]
	s_mul_u64 s[6:7], s[6:7], s[16:17]
	s_add_nc_u64 s[6:7], s[6:7], s[22:23]
	v_add_co_u32 v20, s2, s20, v88
	s_wait_alu 0xf1ff
	v_add_co_ci_u32_e64 v21, null, s21, 0, s2
	s_cbranch_vccnz .LBB0_4
; %bb.3:
	v_mad_co_u64_u32 v[1:2], null, s4, v88, 0
	v_mad_co_u64_u32 v[3:4], null, s8, v86, 0
	v_add_nc_u32_e32 v15, 49, v86
	s_lshl_b64 s[16:17], s[6:7], 3
	v_add_nc_u32_e32 v31, 28, v86
	s_add_nc_u64 s[16:17], s[12:13], s[16:17]
	v_add_nc_u32_e32 v27, 0x46, v86
	v_add_nc_u32_e32 v41, 0x4d, v86
	v_mad_co_u64_u32 v[5:6], null, s5, v88, v[2:3]
	v_add_nc_u32_e32 v13, 42, v86
	s_delay_alu instid0(VALU_DEP_3)
	v_mad_co_u64_u32 v[32:33], null, s8, v41, 0
	v_add_nc_u32_e32 v30, 14, v86
	v_add_nc_u32_e32 v18, 56, v86
	v_mov_b32_e32 v2, v5
	v_mad_co_u64_u32 v[10:11], null, s9, v86, v[4:5]
	v_add_nc_u32_e32 v87, 7, v86
	v_mad_co_u64_u32 v[6:7], null, s8, v13, 0
	s_delay_alu instid0(VALU_DEP_4)
	v_lshlrev_b64_e32 v[1:2], 3, v[1:2]
	v_mad_co_u64_u32 v[11:12], null, s8, v15, 0
	v_mov_b32_e32 v4, v10
	v_mad_co_u64_u32 v[8:9], null, s8, v87, 0
	v_mov_b32_e32 v5, v7
	v_add_co_u32 v39, vcc_lo, s16, v1
	s_delay_alu instid0(VALU_DEP_4) | instskip(SKIP_3) | instid1(VALU_DEP_4)
	v_lshlrev_b64_e32 v[3:4], 3, v[3:4]
	v_add_co_ci_u32_e32 v40, vcc_lo, s17, v2, vcc_lo
	v_mov_b32_e32 v7, v9
	v_mad_co_u64_u32 v[9:10], null, s9, v13, v[5:6]
	v_add_co_u32 v1, vcc_lo, v39, v3
	s_delay_alu instid0(VALU_DEP_3) | instskip(SKIP_2) | instid1(VALU_DEP_4)
	v_mad_co_u64_u32 v[13:14], null, s9, v87, v[7:8]
	s_wait_alu 0xfffd
	v_add_co_ci_u32_e32 v2, vcc_lo, v40, v4, vcc_lo
	v_dual_mov_b32 v7, v9 :: v_dual_add_nc_u32 v26, 21, v86
	v_dual_mov_b32 v3, v12 :: v_dual_add_nc_u32 v36, 35, v86
	s_delay_alu instid0(VALU_DEP_4) | instskip(NEXT) | instid1(VALU_DEP_3)
	v_mov_b32_e32 v9, v13
	v_lshlrev_b64_e32 v[4:5], 3, v[6:7]
	s_delay_alu instid0(VALU_DEP_4) | instskip(NEXT) | instid1(VALU_DEP_2)
	v_mad_co_u64_u32 v[22:23], null, s8, v26, 0
	v_mad_co_u64_u32 v[6:7], null, s9, v15, v[3:4]
	s_delay_alu instid0(VALU_DEP_4)
	v_lshlrev_b64_e32 v[7:8], 3, v[8:9]
	v_mad_co_u64_u32 v[9:10], null, s8, v30, 0
	v_add_co_u32 v3, vcc_lo, v39, v4
	s_wait_alu 0xfffd
	v_add_co_ci_u32_e32 v4, vcc_lo, v40, v5, vcc_lo
	v_mov_b32_e32 v12, v6
	v_add_co_u32 v13, vcc_lo, v39, v7
	v_mov_b32_e32 v5, v10
	s_wait_alu 0xfffd
	v_add_co_ci_u32_e32 v14, vcc_lo, v40, v8, vcc_lo
	v_lshlrev_b64_e32 v[6:7], 3, v[11:12]
	v_mad_co_u64_u32 v[11:12], null, s8, v18, 0
	s_delay_alu instid0(VALU_DEP_2) | instskip(SKIP_1) | instid1(VALU_DEP_3)
	v_mad_co_u64_u32 v[15:16], null, s9, v30, v[5:6]
	v_add_co_u32 v16, vcc_lo, v39, v6
	v_mov_b32_e32 v5, v12
	s_wait_alu 0xfffd
	v_add_co_ci_u32_e32 v17, vcc_lo, v40, v7, vcc_lo
	s_delay_alu instid0(VALU_DEP_4) | instskip(NEXT) | instid1(VALU_DEP_3)
	v_mov_b32_e32 v10, v15
	v_mad_co_u64_u32 v[24:25], null, s9, v18, v[5:6]
	s_clause 0x3
	global_load_b64 v[5:6], v[1:2], off
	global_load_b64 v[7:8], v[3:4], off
	;; [unrolled: 1-line block ×4, first 2 shown]
	v_dual_mov_b32 v13, v23 :: v_dual_add_nc_u32 v18, 63, v86
	v_mad_co_u64_u32 v[16:17], null, s8, v31, 0
	v_lshlrev_b64_e32 v[9:10], 3, v[9:10]
	s_delay_alu instid0(VALU_DEP_3) | instskip(NEXT) | instid1(VALU_DEP_4)
	v_mad_co_u64_u32 v[13:14], null, s9, v26, v[13:14]
	v_mad_co_u64_u32 v[14:15], null, s8, v18, 0
	v_mov_b32_e32 v12, v24
	s_delay_alu instid0(VALU_DEP_4)
	v_add_co_u32 v9, vcc_lo, v39, v9
	s_wait_alu 0xfffd
	v_add_co_ci_u32_e32 v10, vcc_lo, v40, v10, vcc_lo
	v_mov_b32_e32 v23, v13
	v_mov_b32_e32 v13, v15
	v_lshlrev_b64_e32 v[11:12], 3, v[11:12]
	s_delay_alu instid0(VALU_DEP_2)
	v_mad_co_u64_u32 v[24:25], null, s9, v18, v[13:14]
	v_mad_co_u64_u32 v[25:26], null, s8, v27, 0
	v_mov_b32_e32 v13, v17
	v_lshlrev_b64_e32 v[17:18], 3, v[22:23]
	v_add_co_u32 v11, vcc_lo, v39, v11
	v_mov_b32_e32 v15, v24
	s_delay_alu instid0(VALU_DEP_4)
	v_mad_co_u64_u32 v[22:23], null, s9, v31, v[13:14]
	v_mad_co_u64_u32 v[23:24], null, s8, v36, 0
	v_mov_b32_e32 v13, v26
	s_wait_alu 0xfffd
	v_add_co_ci_u32_e32 v12, vcc_lo, v40, v12, vcc_lo
	v_add_co_u32 v34, vcc_lo, v39, v17
	s_delay_alu instid0(VALU_DEP_3)
	v_mad_co_u64_u32 v[26:27], null, s9, v27, v[13:14]
	v_lshlrev_b64_e32 v[14:15], 3, v[14:15]
	v_mov_b32_e32 v13, v24
	v_mov_b32_e32 v17, v22
	s_wait_alu 0xfffd
	v_add_co_ci_u32_e32 v35, vcc_lo, v40, v18, vcc_lo
	s_delay_alu instid0(VALU_DEP_3) | instskip(SKIP_4) | instid1(VALU_DEP_4)
	v_mad_co_u64_u32 v[36:37], null, s9, v36, v[13:14]
	v_add_co_u32 v37, vcc_lo, v39, v14
	s_wait_alu 0xfffd
	v_add_co_ci_u32_e32 v38, vcc_lo, v40, v15, vcc_lo
	v_lshlrev_b64_e32 v[14:15], 3, v[16:17]
	v_dual_mov_b32 v13, v33 :: v_dual_mov_b32 v24, v36
	s_delay_alu instid0(VALU_DEP_1) | instskip(SKIP_2) | instid1(VALU_DEP_4)
	v_mad_co_u64_u32 v[16:17], null, s9, v41, v[13:14]
	v_lshlrev_b64_e32 v[17:18], 3, v[25:26]
	v_add_co_u32 v13, vcc_lo, v39, v14
	v_lshlrev_b64_e32 v[22:23], 3, v[23:24]
	s_wait_alu 0xfffd
	v_add_co_ci_u32_e32 v14, vcc_lo, v40, v15, vcc_lo
	v_mov_b32_e32 v33, v16
	v_add_co_u32 v17, vcc_lo, v39, v17
	s_wait_alu 0xfffd
	v_add_co_ci_u32_e32 v18, vcc_lo, v40, v18, vcc_lo
	s_delay_alu instid0(VALU_DEP_3) | instskip(SKIP_3) | instid1(VALU_DEP_3)
	v_lshlrev_b64_e32 v[15:16], 3, v[32:33]
	v_add_co_u32 v32, vcc_lo, v39, v22
	s_wait_alu 0xfffd
	v_add_co_ci_u32_e32 v33, vcc_lo, v40, v23, vcc_lo
	v_add_co_u32 v39, vcc_lo, v39, v15
	s_wait_alu 0xfffd
	v_add_co_ci_u32_e32 v40, vcc_lo, v40, v16, vcc_lo
	s_clause 0x7
	global_load_b64 v[24:25], v[9:10], off
	global_load_b64 v[15:16], v[11:12], off
	;; [unrolled: 1-line block ×8, first 2 shown]
	s_cbranch_execz .LBB0_5
	s_branch .LBB0_10
.LBB0_4:
                                        ; implicit-def: $vgpr1
                                        ; implicit-def: $vgpr15
                                        ; implicit-def: $vgpr13
                                        ; implicit-def: $vgpr9
                                        ; implicit-def: $vgpr17
                                        ; implicit-def: $vgpr11
                                        ; implicit-def: $vgpr26
                                        ; implicit-def: $vgpr22
                                        ; implicit-def: $vgpr24
                                        ; implicit-def: $vgpr3
                                        ; implicit-def: $vgpr7
                                        ; implicit-def: $vgpr5
                                        ; implicit-def: $vgpr87
                                        ; implicit-def: $vgpr30
                                        ; implicit-def: $vgpr31
	s_and_not1_b32 vcc_lo, exec_lo, s18
	s_cbranch_vccnz .LBB0_10
.LBB0_5:
	s_mov_b32 s2, exec_lo
                                        ; implicit-def: $vgpr87
                                        ; implicit-def: $vgpr30
                                        ; implicit-def: $vgpr31
	v_cmpx_le_u64_e64 s[10:11], v[20:21]
	s_wait_alu 0xfffe
	s_xor_b32 s2, exec_lo, s2
; %bb.6:
	v_add_nc_u32_e32 v87, 7, v86
	v_add_nc_u32_e32 v30, 14, v86
	;; [unrolled: 1-line block ×3, first 2 shown]
                                        ; implicit-def: $vgpr19
                                        ; implicit-def: $vgpr28
                                        ; implicit-def: $vgpr29
; %bb.7:
	s_wait_alu 0xfffe
	s_or_saveexec_b32 s2, s2
                                        ; implicit-def: $vgpr1
                                        ; implicit-def: $vgpr15
                                        ; implicit-def: $vgpr13
                                        ; implicit-def: $vgpr9
                                        ; implicit-def: $vgpr17
                                        ; implicit-def: $vgpr11
                                        ; implicit-def: $vgpr26
                                        ; implicit-def: $vgpr22
                                        ; implicit-def: $vgpr24
                                        ; implicit-def: $vgpr3
                                        ; implicit-def: $vgpr7
                                        ; implicit-def: $vgpr5
	s_wait_alu 0xfffe
	s_xor_b32 exec_lo, exec_lo, s2
	s_cbranch_execz .LBB0_9
; %bb.8:
	s_wait_loadcnt 0x8
	v_mad_co_u64_u32 v[1:2], null, s4, v88, 0
	v_mad_co_u64_u32 v[3:4], null, s8, v86, 0
	s_wait_loadcnt 0x0
	v_add_nc_u32_e32 v13, 42, v86
	v_mad_co_u64_u32 v[5:6], null, s8, v19, 0
	v_add_nc_u32_e32 v14, 49, v86
	s_lshl_b64 s[16:17], s[6:7], 3
	s_delay_alu instid0(VALU_DEP_3) | instskip(SKIP_1) | instid1(VALU_DEP_4)
	v_mad_co_u64_u32 v[7:8], null, s8, v13, 0
	v_mad_co_u64_u32 v[9:10], null, s5, v88, v[2:3]
	;; [unrolled: 1-line block ×4, first 2 shown]
	s_delay_alu instid0(VALU_DEP_4) | instskip(SKIP_2) | instid1(VALU_DEP_4)
	v_mov_b32_e32 v4, v8
	s_wait_alu 0xfffe
	s_add_nc_u64 s[16:17], s[12:13], s[16:17]
	v_mov_b32_e32 v2, v9
	v_add_nc_u32_e32 v22, 56, v86
	v_add_nc_u32_e32 v24, 21, v86
	v_mad_co_u64_u32 v[8:9], null, s9, v13, v[4:5]
	v_mov_b32_e32 v4, v10
	v_lshlrev_b64_e32 v[1:2], 3, v[1:2]
	v_mad_co_u64_u32 v[9:10], null, s9, v19, v[6:7]
	v_mov_b32_e32 v10, v12
	s_delay_alu instid0(VALU_DEP_4)
	v_lshlrev_b64_e32 v[3:4], 3, v[3:4]
	v_add_nc_u32_e32 v37, 0x4d, v86
	s_wait_alu 0xfffe
	v_add_co_u32 v39, vcc_lo, s16, v1
	s_wait_alu 0xfffd
	v_add_co_ci_u32_e32 v40, vcc_lo, s17, v2, vcc_lo
	v_mov_b32_e32 v6, v9
	s_delay_alu instid0(VALU_DEP_3) | instskip(SKIP_1) | instid1(VALU_DEP_3)
	v_add_co_u32 v1, vcc_lo, v39, v3
	s_wait_alu 0xfffd
	v_add_co_ci_u32_e32 v2, vcc_lo, v40, v4, vcc_lo
	v_lshlrev_b64_e32 v[3:4], 3, v[7:8]
	v_mad_co_u64_u32 v[7:8], null, s9, v14, v[10:11]
	v_mad_co_u64_u32 v[9:10], null, s8, v28, 0
	v_lshlrev_b64_e32 v[5:6], 3, v[5:6]
	s_delay_alu instid0(VALU_DEP_4) | instskip(SKIP_2) | instid1(VALU_DEP_4)
	v_add_co_u32 v3, vcc_lo, v39, v3
	s_wait_alu 0xfffd
	v_add_co_ci_u32_e32 v4, vcc_lo, v40, v4, vcc_lo
	v_dual_mov_b32 v12, v7 :: v_dual_mov_b32 v7, v10
	v_mad_co_u64_u32 v[13:14], null, s8, v22, 0
	v_add_co_u32 v15, vcc_lo, v39, v5
	s_wait_alu 0xfffd
	v_add_co_ci_u32_e32 v16, vcc_lo, v40, v6, vcc_lo
	v_lshlrev_b64_e32 v[5:6], 3, v[11:12]
	v_mad_co_u64_u32 v[7:8], null, s9, v28, v[7:8]
	v_mov_b32_e32 v8, v14
	v_mad_co_u64_u32 v[11:12], null, s8, v24, 0
	s_delay_alu instid0(VALU_DEP_4)
	v_add_co_u32 v17, vcc_lo, v39, v5
	s_wait_alu 0xfffd
	v_add_co_ci_u32_e32 v18, vcc_lo, v40, v6, vcc_lo
	v_mov_b32_e32 v10, v7
	v_mad_co_u64_u32 v[22:23], null, s9, v22, v[8:9]
	s_clause 0x3
	global_load_b64 v[5:6], v[1:2], off
	global_load_b64 v[7:8], v[3:4], off
	;; [unrolled: 1-line block ×4, first 2 shown]
	v_dual_mov_b32 v87, v19 :: v_dual_add_nc_u32 v18, 63, v86
	v_mad_co_u64_u32 v[15:16], null, s9, v24, v[12:13]
	v_add_nc_u32_e32 v32, 0x46, v86
	s_delay_alu instid0(VALU_DEP_3)
	v_mad_co_u64_u32 v[16:17], null, s8, v18, 0
	v_mov_b32_e32 v14, v22
	v_mad_co_u64_u32 v[22:23], null, s8, v29, 0
	v_mov_b32_e32 v12, v15
	;; [unrolled: 2-line block ×3, first 2 shown]
	v_lshlrev_b64_e32 v[13:14], 3, v[13:14]
	s_delay_alu instid0(VALU_DEP_4) | instskip(NEXT) | instid1(VALU_DEP_3)
	v_lshlrev_b64_e32 v[11:12], 3, v[11:12]
	v_mad_co_u64_u32 v[17:18], null, s9, v18, v[15:16]
	v_dual_mov_b32 v15, v23 :: v_dual_add_nc_u32 v18, 35, v86
	s_delay_alu instid0(VALU_DEP_1) | instskip(NEXT) | instid1(VALU_DEP_2)
	v_mad_co_u64_u32 v[30:31], null, s8, v18, 0
	v_mad_co_u64_u32 v[26:27], null, s9, v29, v[15:16]
	v_mov_b32_e32 v15, v25
	s_delay_alu instid0(VALU_DEP_1) | instskip(SKIP_4) | instid1(VALU_DEP_3)
	v_mad_co_u64_u32 v[32:33], null, s9, v32, v[15:16]
	v_lshlrev_b64_e32 v[16:17], 3, v[16:17]
	v_mov_b32_e32 v15, v31
	v_mov_b32_e32 v23, v26
	v_mad_co_u64_u32 v[33:34], null, s8, v37, 0
	v_mad_co_u64_u32 v[26:27], null, s9, v18, v[15:16]
	v_mov_b32_e32 v25, v32
	s_delay_alu instid0(VALU_DEP_3) | instskip(NEXT) | instid1(VALU_DEP_3)
	v_mov_b32_e32 v15, v34
	v_mov_b32_e32 v31, v26
	v_lshlrev_b64_e32 v[9:10], 3, v[9:10]
	s_delay_alu instid0(VALU_DEP_1) | instskip(SKIP_1) | instid1(VALU_DEP_2)
	v_add_co_u32 v9, vcc_lo, v39, v9
	s_wait_alu 0xfffd
	v_add_co_ci_u32_e32 v10, vcc_lo, v40, v10, vcc_lo
	v_add_co_u32 v13, vcc_lo, v39, v13
	s_wait_alu 0xfffd
	v_add_co_ci_u32_e32 v14, vcc_lo, v40, v14, vcc_lo
	;; [unrolled: 3-line block ×4, first 2 shown]
	v_lshlrev_b64_e32 v[16:17], 3, v[22:23]
	s_delay_alu instid0(VALU_DEP_1)
	v_mad_co_u64_u32 v[22:23], null, s9, v37, v[15:16]
	v_lshlrev_b64_e32 v[23:24], 3, v[24:25]
	v_add_co_u32 v37, vcc_lo, v39, v16
	v_lshlrev_b64_e32 v[15:16], 3, v[30:31]
	s_wait_alu 0xfffd
	v_add_co_ci_u32_e32 v38, vcc_lo, v40, v17, vcc_lo
	v_mov_b32_e32 v34, v22
	v_add_co_u32 v17, vcc_lo, v39, v23
	s_wait_alu 0xfffd
	v_add_co_ci_u32_e32 v18, vcc_lo, v40, v24, vcc_lo
	s_delay_alu instid0(VALU_DEP_3) | instskip(SKIP_3) | instid1(VALU_DEP_3)
	v_lshlrev_b64_e32 v[22:23], 3, v[33:34]
	v_add_co_u32 v30, vcc_lo, v39, v15
	s_wait_alu 0xfffd
	v_add_co_ci_u32_e32 v31, vcc_lo, v40, v16, vcc_lo
	v_add_co_u32 v32, vcc_lo, v39, v22
	s_wait_alu 0xfffd
	v_add_co_ci_u32_e32 v33, vcc_lo, v40, v23, vcc_lo
	s_clause 0x7
	global_load_b64 v[24:25], v[9:10], off
	global_load_b64 v[15:16], v[13:14], off
	;; [unrolled: 1-line block ×8, first 2 shown]
	v_dual_mov_b32 v31, v29 :: v_dual_mov_b32 v30, v28
.LBB0_9:
	s_or_b32 exec_lo, exec_lo, s2
.LBB0_10:
	s_wait_loadcnt 0xa
	v_dual_sub_f32 v7, v5, v7 :: v_dual_sub_f32 v8, v6, v8
	s_wait_loadcnt 0x8
	v_dual_sub_f32 v1, v3, v1 :: v_dual_sub_f32 v2, v4, v2
	v_mul_u32_u24_e32 v19, 0x1b0, v86
	s_wait_loadcnt 0x0
	v_dual_sub_f32 v13, v9, v13 :: v_dual_lshlrev_b32 v50, 3, v88
	v_mul_i32_i24_e32 v28, 0x1b0, v87
	v_fma_f32 v5, v5, 2.0, -v7
	v_fma_f32 v6, v6, 2.0, -v8
	v_fma_f32 v3, v3, 2.0, -v1
	v_fma_f32 v4, v4, 2.0, -v2
	v_add3_u32 v19, 0, v19, v50
	v_add3_u32 v28, 0, v28, v50
	v_mul_i32_i24_e32 v29, 0x1b0, v30
	v_dual_sub_f32 v15, v24, v15 :: v_dual_sub_f32 v16, v25, v16
	v_dual_sub_f32 v26, v22, v26 :: v_dual_sub_f32 v27, v23, v27
	ds_store_2addr_b64 v19, v[5:6], v[7:8] offset1:27
	ds_store_2addr_b64 v28, v[3:4], v[1:2] offset1:27
	v_add3_u32 v28, 0, v29, v50
	v_and_b32_e32 v29, 1, v86
	v_dual_sub_f32 v17, v11, v17 :: v_dual_sub_f32 v18, v12, v18
	v_mul_i32_i24_e32 v5, 0x1b0, v31
	v_dual_sub_f32 v14, v10, v14 :: v_dual_add_nc_u32 v1, 0x2000, v19
	v_fma_f32 v24, v24, 2.0, -v15
	v_fma_f32 v25, v25, 2.0, -v16
	;; [unrolled: 1-line block ×4, first 2 shown]
	v_mul_u32_u24_e32 v3, 5, v29
	v_fma_f32 v11, v11, 2.0, -v17
	v_fma_f32 v12, v12, 2.0, -v18
	v_add3_u32 v32, 0, v5, v50
	v_fma_f32 v9, v9, 2.0, -v13
	v_fma_f32 v10, v10, 2.0, -v14
	v_add_nc_u32_e32 v2, 0x3800, v19
	ds_store_2addr_b64 v28, v[24:25], v[15:16] offset1:27
	ds_store_2addr_b64 v1, v[22:23], v[26:27] offset0:110 offset1:137
	ds_store_2addr_b64 v32, v[11:12], v[17:18] offset1:27
	ds_store_2addr_b64 v2, v[9:10], v[13:14] offset0:98 offset1:125
	v_lshlrev_b32_e32 v1, 3, v3
	global_wb scope:SCOPE_SE
	s_wait_dscnt 0x0
	s_barrier_signal -1
	s_barrier_wait -1
	global_inv scope:SCOPE_SE
	s_clause 0x1
	global_load_b128 v[3:6], v1, s[14:15]
	global_load_b128 v[7:10], v1, s[14:15] offset:16
	v_and_b32_e32 v22, 1, v87
	v_mul_i32_i24_e32 v23, 0xd8, v87
	v_cmp_gt_u32_e64 s2, 0x87, v0
	s_mov_b32 s16, 0
	s_delay_alu instid0(VALU_DEP_3) | instskip(NEXT) | instid1(VALU_DEP_1)
	v_mul_u32_u24_e32 v2, 5, v22
	v_lshlrev_b32_e32 v2, 3, v2
	s_clause 0x3
	global_load_b64 v[34:35], v1, s[14:15] offset:32
	global_load_b128 v[11:14], v2, s[14:15]
	global_load_b128 v[15:18], v2, s[14:15] offset:16
	global_load_b64 v[36:37], v2, s[14:15] offset:32
	v_lshrrev_b32_e32 v1, 1, v87
	v_lshrrev_b32_e32 v2, 1, v86
	s_delay_alu instid0(VALU_DEP_2) | instskip(SKIP_2) | instid1(VALU_DEP_4)
	v_mul_lo_u32 v24, v1, 12
	v_mad_i32_i24 v1, 0xffffff28, v86, v19
	v_mad_i32_i24 v19, 0xffffff28, v30, v28
	v_mul_u32_u24_e32 v25, 12, v2
	v_add3_u32 v2, 0, v23, v50
	v_mad_i32_i24 v23, 0xffffff28, v31, v32
	ds_load_b64 v[38:39], v19
	ds_load_b64 v[40:41], v23
	v_or_b32_e32 v26, v24, v22
	v_add_nc_u32_e32 v22, 0x1c00, v1
	v_add_nc_u32_e32 v19, 0x2800, v1
	;; [unrolled: 1-line block ×3, first 2 shown]
	s_delay_alu instid0(VALU_DEP_4)
	v_mul_lo_u32 v52, 0xd8, v26
	s_wait_loadcnt_dscnt 0x500
	v_mul_f32_e32 v54, v6, v41
	v_or_b32_e32 v25, v25, v29
	v_dual_mul_f32 v6, v6, v40 :: v_dual_mul_f32 v53, v4, v39
	v_mul_f32_e32 v4, v4, v38
	s_delay_alu instid0(VALU_DEP_3)
	v_mul_u32_u24_e32 v51, 0xd8, v25
	ds_load_2addr_b64 v[22:25], v22 offset0:49 offset1:238
	ds_load_2addr_b64 v[26:29], v19 offset0:43 offset1:232
	;; [unrolled: 1-line block ×3, first 2 shown]
	ds_load_b64 v[42:43], v1
	ds_load_b64 v[44:45], v1 offset:4536
	ds_load_b64 v[46:47], v2
	ds_load_b64 v[48:49], v1 offset:16632
	v_fmac_f32_e32 v53, v3, v38
	v_fma_f32 v38, v3, v39, -v4
	v_add3_u32 v19, 0, v51, v50
	v_fma_f32 v3, v5, v41, -v6
	v_add3_u32 v50, 0, v52, v50
	global_wb scope:SCOPE_SE
	s_wait_loadcnt_dscnt 0x0
	s_barrier_signal -1
	v_add_nc_u32_e32 v51, 0x400, v19
	s_barrier_wait -1
	v_add_nc_u32_e32 v52, 0x400, v50
	global_inv scope:SCOPE_SE
	v_dual_mul_f32 v56, v10, v29 :: v_dual_mul_f32 v61, v31, v18
	v_dual_mul_f32 v10, v10, v28 :: v_dual_mul_f32 v57, v33, v35
	v_mul_f32_e32 v59, v23, v14
	v_mul_f32_e32 v55, v8, v25
	v_mul_f32_e32 v8, v8, v24
	s_delay_alu instid0(VALU_DEP_4) | instskip(NEXT) | instid1(VALU_DEP_4)
	v_dual_mul_f32 v58, v45, v12 :: v_dual_fmac_f32 v57, v32, v34
	v_dual_mul_f32 v12, v44, v12 :: v_dual_fmac_f32 v59, v22, v13
	s_delay_alu instid0(VALU_DEP_4)
	v_dual_mul_f32 v14, v22, v14 :: v_dual_fmac_f32 v55, v7, v24
	v_dual_mul_f32 v60, v27, v16 :: v_dual_fmac_f32 v61, v30, v17
	v_mul_f32_e32 v16, v26, v16
	v_fmac_f32_e32 v54, v5, v40
	v_fma_f32 v5, v9, v29, -v10
	v_mul_f32_e32 v18, v30, v18
	v_fma_f32 v4, v7, v25, -v8
	v_fma_f32 v7, v23, v13, -v14
	v_fmac_f32_e32 v60, v26, v15
	v_fma_f32 v8, v27, v15, -v16
	v_sub_f32_e32 v14, v3, v5
	v_add_f32_e32 v15, v43, v3
	v_add_f32_e32 v3, v3, v5
	v_fma_f32 v10, v31, v17, -v18
	v_dual_mul_f32 v35, v32, v35 :: v_dual_fmac_f32 v56, v9, v28
	v_add_f32_e32 v25, v46, v59
	v_dual_fmac_f32 v58, v44, v11 :: v_dual_add_f32 v23, v38, v4
	s_delay_alu instid0(VALU_DEP_4) | instskip(NEXT) | instid1(VALU_DEP_4)
	v_dual_sub_f32 v27, v7, v10 :: v_dual_mul_f32 v62, v49, v37
	v_add_f32_e32 v13, v54, v56
	v_mul_f32_e32 v37, v48, v37
	v_fma_f32 v6, v33, v34, -v35
	v_fma_f32 v9, v45, v11, -v12
	v_dual_fmac_f32 v62, v48, v36 :: v_dual_add_f32 v17, v53, v55
	s_delay_alu instid0(VALU_DEP_4) | instskip(SKIP_1) | instid1(VALU_DEP_4)
	v_fma_f32 v11, v49, v36, -v37
	v_dual_add_f32 v12, v42, v54 :: v_dual_sub_f32 v29, v59, v61
	v_dual_add_f32 v18, v55, v57 :: v_dual_add_f32 v33, v9, v8
	v_dual_sub_f32 v22, v4, v6 :: v_dual_fmac_f32 v43, -0.5, v3
	v_add_f32_e32 v4, v4, v6
	v_add_f32_e32 v28, v47, v7
	;; [unrolled: 1-line block ×3, first 2 shown]
	v_dual_add_f32 v26, v59, v61 :: v_dual_add_f32 v31, v60, v62
	v_sub_f32_e32 v32, v8, v11
	v_fma_f32 v35, -0.5, v13, v42
	v_add_f32_e32 v8, v8, v11
	v_dual_sub_f32 v16, v54, v56 :: v_dual_add_f32 v13, v15, v5
	v_dual_sub_f32 v24, v55, v57 :: v_dual_fmac_f32 v53, -0.5, v18
	v_dual_add_f32 v30, v58, v60 :: v_dual_add_f32 v11, v33, v11
	v_sub_f32_e32 v34, v60, v62
	v_dual_add_f32 v12, v12, v56 :: v_dual_add_f32 v5, v17, v57
	v_add_f32_e32 v6, v23, v6
	v_dual_fmac_f32 v38, -0.5, v4 :: v_dual_fmac_f32 v47, -0.5, v7
	v_fma_f32 v17, -0.5, v26, v46
	v_fmamk_f32 v23, v14, 0xbf5db3d7, v35
	v_fmac_f32_e32 v9, -0.5, v8
	v_dual_add_f32 v15, v25, v61 :: v_dual_add_f32 v10, v28, v10
	v_dual_fmac_f32 v58, -0.5, v31 :: v_dual_fmac_f32 v35, 0x3f5db3d7, v14
	v_dual_add_f32 v18, v30, v62 :: v_dual_add_f32 v3, v12, v5
	v_sub_f32_e32 v5, v12, v5
	v_fmamk_f32 v14, v16, 0x3f5db3d7, v43
	v_fmac_f32_e32 v43, 0xbf5db3d7, v16
	s_delay_alu instid0(VALU_DEP_4)
	v_dual_add_f32 v7, v15, v18 :: v_dual_fmamk_f32 v16, v22, 0xbf5db3d7, v53
	v_dual_fmac_f32 v53, 0x3f5db3d7, v22 :: v_dual_fmamk_f32 v22, v24, 0x3f5db3d7, v38
	v_fmamk_f32 v26, v27, 0xbf5db3d7, v17
	v_dual_fmac_f32 v17, 0x3f5db3d7, v27 :: v_dual_add_f32 v4, v13, v6
	v_dual_sub_f32 v25, v10, v11 :: v_dual_sub_f32 v6, v13, v6
	v_fmamk_f32 v13, v34, 0x3f5db3d7, v9
	v_fmac_f32_e32 v38, 0xbf5db3d7, v24
	v_fmamk_f32 v27, v29, 0x3f5db3d7, v47
	v_dual_fmac_f32 v47, 0xbf5db3d7, v29 :: v_dual_fmamk_f32 v12, v32, 0xbf5db3d7, v58
	v_fmac_f32_e32 v9, 0xbf5db3d7, v34
	v_dual_mul_f32 v29, 0xbf5db3d7, v13 :: v_dual_sub_f32 v24, v15, v18
	v_dual_mul_f32 v15, 0xbf5db3d7, v22 :: v_dual_add_f32 v8, v10, v11
	v_dual_mul_f32 v33, 0.5, v13 :: v_dual_mul_f32 v22, 0.5, v22
	s_delay_alu instid0(VALU_DEP_3) | instskip(NEXT) | instid1(VALU_DEP_3)
	v_fmac_f32_e32 v29, 0.5, v12
	v_dual_fmac_f32 v15, 0.5, v16 :: v_dual_mul_f32 v18, 0xbf5db3d7, v38
	v_fmac_f32_e32 v58, 0x3f5db3d7, v32
	s_delay_alu instid0(VALU_DEP_4) | instskip(NEXT) | instid1(VALU_DEP_3)
	v_dual_fmac_f32 v33, 0x3f5db3d7, v12 :: v_dual_mul_f32 v28, -0.5, v38
	v_dual_sub_f32 v13, v23, v15 :: v_dual_fmac_f32 v18, -0.5, v53
	v_mul_f32_e32 v34, -0.5, v9
	v_dual_mul_f32 v32, 0xbf5db3d7, v9 :: v_dual_add_f32 v9, v23, v15
	s_delay_alu instid0(VALU_DEP_3) | instskip(NEXT) | instid1(VALU_DEP_3)
	v_dual_fmac_f32 v22, 0x3f5db3d7, v16 :: v_dual_sub_f32 v15, v35, v18
	v_dual_fmac_f32 v34, 0x3f5db3d7, v58 :: v_dual_add_f32 v23, v27, v33
	v_fmac_f32_e32 v28, 0x3f5db3d7, v53
	s_delay_alu instid0(VALU_DEP_3) | instskip(SKIP_1) | instid1(VALU_DEP_4)
	v_add_f32_e32 v10, v14, v22
	v_sub_f32_e32 v14, v14, v22
	v_add_f32_e32 v31, v47, v34
	v_add_f32_e32 v11, v35, v18
	v_fmac_f32_e32 v32, -0.5, v58
	v_add_f32_e32 v12, v43, v28
	v_sub_f32_e32 v16, v43, v28
	v_add_f32_e32 v22, v26, v29
	v_sub_f32_e32 v28, v26, v29
	v_add_f32_e32 v30, v17, v32
	v_dual_sub_f32 v26, v17, v32 :: v_dual_sub_f32 v29, v27, v33
	v_sub_f32_e32 v27, v47, v34
	ds_store_2addr_b64 v19, v[3:4], v[9:10] offset1:54
	ds_store_2addr_b64 v19, v[11:12], v[5:6] offset0:108 offset1:162
	ds_store_2addr_b64 v51, v[13:14], v[15:16] offset0:88 offset1:142
	ds_store_2addr_b64 v50, v[7:8], v[22:23] offset1:54
	ds_store_2addr_b64 v50, v[30:31], v[24:25] offset0:108 offset1:162
	ds_store_2addr_b64 v52, v[28:29], v[26:27] offset0:88 offset1:142
	global_wb scope:SCOPE_SE
	s_wait_dscnt 0x0
	s_barrier_signal -1
	s_barrier_wait -1
	global_inv scope:SCOPE_SE
	ds_load_b64 v[36:37], v1
	ds_load_b64 v[54:55], v1 offset:2592
	ds_load_b64 v[52:53], v1 offset:5184
	;; [unrolled: 1-line block ×6, first 2 shown]
                                        ; implicit-def: $vgpr35
                                        ; implicit-def: $vgpr33
	s_and_saveexec_b32 s17, s2
	s_cbranch_execz .LBB0_12
; %bb.11:
	v_add_nc_u32_e32 v0, 0x1800, v1
	ds_load_b64 v[30:31], v1 offset:4104
	ds_load_b64 v[28:29], v1 offset:9288
	;; [unrolled: 1-line block ×4, first 2 shown]
	ds_load_2addr_b32 v[24:25], v0 offset0:138 offset1:139
	ds_load_b64 v[22:23], v2
	ds_load_b64 v[34:35], v1 offset:17064
.LBB0_12:
	s_wait_alu 0xfffe
	s_or_b32 exec_lo, exec_lo, s17
	v_mul_lo_u16 v0, v86, 22
	s_load_b64 s[0:1], s[0:1], 0x8
	s_and_not1_b32 vcc_lo, exec_lo, s3
	s_delay_alu instid0(VALU_DEP_1) | instskip(NEXT) | instid1(VALU_DEP_1)
	v_lshrrev_b16 v0, 8, v0
	v_mul_lo_u16 v0, v0, 12
	s_delay_alu instid0(VALU_DEP_1) | instskip(NEXT) | instid1(VALU_DEP_1)
	v_sub_nc_u16 v0, v86, v0
	v_and_b32_e32 v89, 0xff, v0
	s_delay_alu instid0(VALU_DEP_1) | instskip(SKIP_1) | instid1(VALU_DEP_2)
	v_mul_u32_u24_e32 v0, 6, v89
	v_mul_lo_u32 v1, v20, v89
	v_lshlrev_b32_e32 v0, 3, v0
	s_delay_alu instid0(VALU_DEP_2)
	v_lshrrev_b32_e32 v3, 5, v1
	s_clause 0x2
	global_load_b128 v[12:15], v0, s[14:15] offset:80
	global_load_b128 v[16:19], v0, s[14:15] offset:96
	global_load_b128 v[66:69], v0, s[14:15] offset:112
	v_and_b32_e32 v2, 0xff, v1
	v_and_b32_e32 v3, 0x7f8, v3
	v_add_nc_u32_e32 v90, 12, v89
	v_add_nc_u32_e32 v91, 24, v89
	;; [unrolled: 1-line block ×3, first 2 shown]
	v_lshlrev_b32_e32 v2, 3, v2
	v_lshrrev_b32_e32 v1, 13, v1
	s_wait_kmcnt 0x0
	s_clause 0x1
	global_load_b64 v[58:59], v2, s[0:1]
	global_load_b64 v[64:65], v3, s[0:1] offset:2048
	v_mul_lo_u32 v0, v20, v90
	v_mul_lo_u32 v4, v20, v91
	;; [unrolled: 1-line block ×3, first 2 shown]
	s_delay_alu instid0(VALU_DEP_3) | instskip(SKIP_1) | instid1(VALU_DEP_4)
	v_and_b32_e32 v5, 0xff, v0
	v_lshrrev_b32_e32 v6, 5, v0
	v_and_b32_e32 v3, 0xff, v4
	v_lshrrev_b32_e32 v57, 13, v0
	v_lshrrev_b32_e32 v70, 13, v4
	;; [unrolled: 1-line block ×3, first 2 shown]
	v_and_b32_e32 v2, 0x7f8, v6
	v_lshrrev_b32_e32 v6, 5, v4
	s_wait_loadcnt_dscnt 0x302
	v_dual_mul_f32 v133, v19, v49 :: v_dual_mul_f32 v132, v17, v51
	s_wait_loadcnt_dscnt 0x201
	v_dual_mul_f32 v134, v67, v47 :: v_dual_lshlrev_b32 v5, 3, v5
	s_clause 0x1
	global_load_b64 v[60:61], v5, s[0:1]
	global_load_b64 v[62:63], v2, s[0:1] offset:2048
	v_lshlrev_b32_e32 v2, 3, v3
	s_wait_dscnt 0x0
	v_dual_mul_f32 v136, v69, v45 :: v_dual_and_b32 v3, 0x7f8, v6
	s_clause 0x1
	global_load_b64 v[72:73], v2, s[0:1]
	global_load_b64 v[74:75], v3, s[0:1] offset:2048
	v_dual_fmac_f32 v133, v18, v48 :: v_dual_and_b32 v2, 0xff, v87
	v_add_nc_u32_e32 v94, 36, v89
	v_or_b32_e32 v3, 48, v89
	v_add_nc_u32_e32 v92, 60, v89
	s_delay_alu instid0(VALU_DEP_4)
	v_mul_lo_u16 v2, 0xab, v2
	v_fmac_f32_e32 v132, v16, v50
	v_mul_lo_u32 v5, v20, v94
	v_mul_lo_u32 v3, v20, v3
	;; [unrolled: 1-line block ×3, first 2 shown]
	v_lshrrev_b16 v2, 11, v2
	v_dual_fmac_f32 v136, v68, v44 :: v_dual_and_b32 v1, 0x7f8, v1
	v_and_b32_e32 v42, 0xff, v7
	v_fmac_f32_e32 v134, v66, v46
	s_delay_alu instid0(VALU_DEP_4)
	v_mul_lo_u16 v2, v2, 12
	v_and_b32_e32 v9, 0xff, v5
	v_lshrrev_b32_e32 v10, 5, v5
	v_and_b32_e32 v38, 0xff, v3
	v_lshrrev_b32_e32 v39, 5, v3
	v_sub_nc_u16 v2, v87, v2
	v_lshlrev_b32_e32 v9, 3, v9
	v_and_b32_e32 v10, 0x7f8, v10
	v_and_b32_e32 v40, 0xff, v6
	v_lshrrev_b32_e32 v41, 5, v6
	v_and_b32_e32 v2, 0xff, v2
	s_clause 0x1
	global_load_b64 v[76:77], v9, s[0:1]
	global_load_b64 v[78:79], v10, s[0:1] offset:2048
	v_lshlrev_b32_e32 v10, 3, v38
	v_lshrrev_b32_e32 v9, 5, v7
	v_and_b32_e32 v38, 0x7f8, v39
	v_mul_u32_u24_e32 v8, 6, v2
	v_lshlrev_b32_e32 v39, 3, v40
	v_and_b32_e32 v40, 0x7f8, v41
	s_wait_loadcnt 0x6
	v_dual_mul_f32 v138, v58, v65 :: v_dual_lshlrev_b32 v41, 3, v42
	s_clause 0x1
	global_load_b64 v[80:81], v10, s[0:1]
	global_load_b64 v[82:83], v38, s[0:1] offset:2048
	v_and_b32_e32 v9, 0x7f8, v9
	v_mul_lo_u32 v11, v20, v2
	s_clause 0x1
	global_load_b64 v[84:85], v39, s[0:1]
	global_load_b64 v[95:96], v40, s[0:1] offset:2048
	v_fmac_f32_e32 v138, v59, v64
	v_add_nc_u32_e32 v10, 12, v2
	v_add_nc_u32_e32 v38, 24, v2
	s_clause 0x1
	global_load_b64 v[97:98], v41, s[0:1]
	global_load_b64 v[99:100], v9, s[0:1] offset:2048
	v_add_nc_u32_e32 v9, 36, v2
	v_or_b32_e32 v39, 48, v2
	v_add_nc_u32_e32 v40, 60, v2
	v_add_nc_u32_e32 v2, 0x48, v2
	v_lshlrev_b32_e32 v41, 3, v8
	v_mul_lo_u32 v42, v20, v10
	v_mul_lo_u32 v43, v20, v9
	v_lshrrev_b32_e32 v71, 13, v5
	v_mul_lo_u32 v56, v20, v2
	v_lshrrev_b32_e32 v103, 13, v3
	v_lshrrev_b32_e32 v104, 13, v6
	v_and_b32_e32 v106, 0xff, v11
	v_lshrrev_b32_e32 v107, 5, v11
	global_load_b64 v[101:102], v1, s[0:1] offset:4096
	v_lshrrev_b32_e32 v108, 13, v11
	s_clause 0x2
	global_load_b128 v[8:11], v41, s[14:15] offset:80
	global_load_b128 v[0:3], v41, s[14:15] offset:112
	;; [unrolled: 1-line block ×3, first 2 shown]
	v_and_b32_e32 v41, 0x7f8, v57
	v_and_b32_e32 v57, 0x7f8, v70
	;; [unrolled: 1-line block ×5, first 2 shown]
	global_load_b64 v[103:104], v41, s[0:1] offset:4096
	v_and_b32_e32 v113, 0x7f8, v105
	v_lshlrev_b32_e32 v115, 3, v106
	v_and_b32_e32 v116, 0x7f8, v107
	v_and_b32_e32 v117, 0x7f8, v108
	s_clause 0x1
	global_load_b64 v[105:106], v70, s[0:1] offset:4096
	global_load_b64 v[107:108], v57, s[0:1] offset:4096
	v_mul_lo_u32 v38, v20, v38
	v_mul_lo_u32 v39, v20, v39
	;; [unrolled: 1-line block ×3, first 2 shown]
	v_and_b32_e32 v118, 0xff, v42
	v_lshrrev_b32_e32 v119, 5, v42
	v_lshrrev_b32_e32 v57, 13, v42
	v_and_b32_e32 v122, 0xff, v43
	s_clause 0x1
	global_load_b64 v[109:110], v71, s[0:1] offset:4096
	global_load_b64 v[111:112], v111, s[0:1] offset:4096
	v_lshrrev_b32_e32 v121, 13, v38
	v_and_b32_e32 v124, 0xff, v39
	v_and_b32_e32 v70, 0xff, v38
	v_lshrrev_b32_e32 v120, 5, v38
	v_lshrrev_b32_e32 v71, 5, v43
	;; [unrolled: 1-line block ×5, first 2 shown]
	v_and_b32_e32 v127, 0xff, v40
	v_lshrrev_b32_e32 v128, 5, v40
	v_lshrrev_b32_e32 v129, 13, v40
	s_clause 0x3
	global_load_b64 v[113:114], v113, s[0:1] offset:4096
	global_load_b64 v[40:41], v115, s[0:1]
	global_load_b64 v[42:43], v116, s[0:1] offset:2048
	global_load_b64 v[38:39], v117, s[0:1] offset:4096
	v_lshlrev_b32_e32 v115, 3, v118
	v_and_b32_e32 v118, 0x7f8, v121
	v_dual_mul_f32 v124, v13, v55 :: v_dual_lshlrev_b32 v121, 3, v124
	v_mul_f32_e32 v13, v13, v54
	v_lshrrev_b32_e32 v131, 5, v56
	v_and_b32_e32 v116, 0x7f8, v119
	v_and_b32_e32 v117, 0x7f8, v120
	v_lshlrev_b32_e32 v119, 3, v122
	v_and_b32_e32 v120, 0x7f8, v123
	v_and_b32_e32 v122, 0x7f8, v125
	;; [unrolled: 1-line block ×3, first 2 shown]
	v_lshlrev_b32_e32 v125, 3, v127
	v_and_b32_e32 v126, 0x7f8, v128
	v_dual_fmac_f32 v124, v12, v54 :: v_dual_and_b32 v127, 0x7f8, v129
	v_fma_f32 v128, v12, v55, -v13
	v_mul_f32_e32 v129, v15, v53
	v_mul_f32_e32 v12, v15, v52
	v_and_b32_e32 v130, 0xff, v56
	v_lshrrev_b32_e32 v56, 13, v56
	v_and_b32_e32 v55, 0x7f8, v131
	v_fmac_f32_e32 v129, v14, v52
	v_fma_f32 v131, v14, v53, -v12
	v_dual_mul_f32 v12, v17, v50 :: v_dual_mul_f32 v13, v19, v48
	v_dual_mul_f32 v14, v67, v46 :: v_dual_mul_f32 v15, v69, v44
	v_and_b32_e32 v57, 0x7f8, v57
	v_lshlrev_b32_e32 v70, 3, v70
	v_and_b32_e32 v71, 0x7f8, v71
	v_lshlrev_b32_e32 v54, 3, v130
	v_and_b32_e32 v130, 0x7f8, v56
	v_fma_f32 v135, v16, v51, -v12
	v_fma_f32 v137, v18, v49, -v13
	s_clause 0x3
	global_load_b64 v[16:17], v115, s[0:1]
	global_load_b64 v[48:49], v116, s[0:1] offset:2048
	global_load_b64 v[18:19], v57, s[0:1] offset:4096
	global_load_b64 v[12:13], v70, s[0:1]
	v_fma_f32 v115, v66, v47, -v14
	v_fma_f32 v116, v68, v45, -v15
	v_mul_f32_e32 v44, v59, v65
	s_clause 0x3
	global_load_b64 v[14:15], v117, s[0:1] offset:2048
	global_load_b64 v[50:51], v118, s[0:1] offset:4096
	global_load_b64 v[56:57], v119, s[0:1]
	global_load_b64 v[70:71], v71, s[0:1] offset:2048
	v_fma_f32 v118, v58, v64, -v44
	s_clause 0x3
	global_load_b64 v[64:65], v120, s[0:1] offset:4096
	global_load_b64 v[66:67], v121, s[0:1]
	global_load_b64 v[68:69], v122, s[0:1] offset:2048
	global_load_b64 v[58:59], v123, s[0:1] offset:4096
	v_add_f32_e32 v120, v128, v116
	v_dual_sub_f32 v116, v128, v116 :: v_dual_add_f32 v121, v129, v134
	v_dual_add_f32 v122, v131, v115 :: v_dual_sub_f32 v123, v129, v134
	v_sub_f32_e32 v115, v131, v115
	s_wait_loadcnt 0x23
	v_mul_f32_e32 v45, v61, v63
	v_mul_f32_e32 v117, v60, v63
	s_delay_alu instid0(VALU_DEP_2) | instskip(NEXT) | instid1(VALU_DEP_2)
	v_fma_f32 v119, v60, v62, -v45
	v_fmac_f32_e32 v117, v61, v62
	s_clause 0x3
	global_load_b64 v[60:61], v125, s[0:1]
	global_load_b64 v[62:63], v126, s[0:1] offset:2048
	global_load_b64 v[52:53], v127, s[0:1] offset:4096
	global_load_b64 v[46:47], v54, s[0:1]
	s_wait_loadcnt 0x25
	v_mul_f32_e32 v44, v73, v75
	v_mul_f32_e32 v75, v72, v75
	v_sub_f32_e32 v125, v133, v132
	s_delay_alu instid0(VALU_DEP_3) | instskip(NEXT) | instid1(VALU_DEP_3)
	v_fma_f32 v72, v72, v74, -v44
	v_fmac_f32_e32 v75, v73, v74
	v_add_f32_e32 v73, v124, v136
	v_sub_f32_e32 v74, v124, v136
	v_add_f32_e32 v124, v132, v133
	s_wait_loadcnt 0x23
	v_mul_f32_e32 v126, v77, v79
	v_mul_f32_e32 v79, v76, v79
	s_delay_alu instid0(VALU_DEP_2) | instskip(NEXT) | instid1(VALU_DEP_2)
	v_fma_f32 v76, v76, v78, -v126
	v_fmac_f32_e32 v79, v77, v78
	v_dual_add_f32 v77, v135, v137 :: v_dual_sub_f32 v126, v137, v135
	s_wait_loadcnt 0x21
	v_mul_f32_e32 v78, v81, v83
	v_mul_f32_e32 v83, v80, v83
	s_wait_loadcnt 0x1f
	v_mul_f32_e32 v127, v85, v96
	v_mul_f32_e32 v96, v84, v96
	v_fma_f32 v78, v80, v82, -v78
	s_wait_loadcnt 0x1d
	v_dual_fmac_f32 v83, v81, v82 :: v_dual_mul_f32 v80, v98, v100
	v_mul_f32_e32 v81, v97, v100
	v_add_f32_e32 v82, v121, v73
	v_add_f32_e32 v100, v122, v120
	v_fma_f32 v84, v84, v95, -v127
	v_fmac_f32_e32 v96, v85, v95
	v_sub_f32_e32 v85, v121, v73
	v_dual_sub_f32 v95, v122, v120 :: v_dual_sub_f32 v120, v120, v77
	v_sub_f32_e32 v121, v124, v121
	v_add_f32_e32 v127, v125, v123
	v_add_f32_e32 v128, v126, v115
	v_fma_f32 v80, v97, v99, -v80
	v_fmac_f32_e32 v81, v98, v99
	v_sub_f32_e32 v97, v125, v123
	v_sub_f32_e32 v98, v126, v115
	;; [unrolled: 1-line block ×5, first 2 shown]
	s_wait_loadcnt 0x1c
	v_mul_f32_e32 v126, v138, v102
	v_dual_mul_f32 v102, v118, v102 :: v_dual_sub_f32 v73, v73, v124
	v_dual_sub_f32 v122, v77, v122 :: v_dual_sub_f32 v115, v115, v116
	v_dual_add_f32 v82, v124, v82 :: v_dual_add_f32 v77, v77, v100
	s_delay_alu instid0(VALU_DEP_3) | instskip(SKIP_1) | instid1(VALU_DEP_3)
	v_dual_add_f32 v74, v127, v74 :: v_dual_mul_f32 v73, 0x3f4a47b2, v73
	v_dual_add_f32 v100, v128, v116 :: v_dual_mul_f32 v97, 0x3f08b237, v97
	v_dual_mul_f32 v116, 0x3f4a47b2, v120 :: v_dual_add_f32 v37, v77, v37
	v_mul_f32_e32 v120, 0x3d64c772, v121
	v_mul_f32_e32 v127, 0xbf5ff5aa, v123
	v_fma_f32 v118, v101, v118, -v126
	s_wait_loadcnt 0x18
	v_mul_f32_e32 v126, v117, v104
	v_dual_fmac_f32 v102, v101, v138 :: v_dual_mul_f32 v101, v119, v104
	v_mul_f32_e32 v124, 0x3d64c772, v122
	v_mul_f32_e32 v128, 0xbf5ff5aa, v115
	s_delay_alu instid0(VALU_DEP_4) | instskip(NEXT) | instid1(VALU_DEP_4)
	v_fma_f32 v119, v103, v119, -v126
	v_dual_mul_f32 v98, 0x3f08b237, v98 :: v_dual_fmac_f32 v101, v103, v117
	s_wait_loadcnt 0x17
	v_mul_f32_e32 v103, v76, v106
	s_clause 0x1
	global_load_b64 v[54:55], v55, s[0:1] offset:2048
	global_load_b64 v[44:45], v130, s[0:1] offset:4096
	s_wait_loadcnt 0x18
	v_dual_mul_f32 v104, v75, v108 :: v_dual_fmamk_f32 v117, v121, 0x3d64c772, v73
	v_fmamk_f32 v121, v122, 0x3d64c772, v116
	v_fma_f32 v122, 0x3f3bfb3b, v95, -v124
	v_fma_f32 v95, 0xbf3bfb3b, v95, -v116
	v_fma_f32 v116, 0xbf5ff5aa, v123, -v97
	v_dual_fmamk_f32 v97, v99, 0xbeae86e6, v97 :: v_dual_add_f32 v36, v82, v36
	v_fma_f32 v99, 0x3eae86e6, v99, -v127
	s_wait_loadcnt 0x15
	v_mul_f32_e32 v123, v81, v114
	v_fma_f32 v124, 0x3eae86e6, v125, -v128
	v_dual_fmac_f32 v97, 0xbee1c552, v74 :: v_dual_mul_f32 v108, v72, v108
	v_fmac_f32_e32 v103, v105, v79
	v_fma_f32 v120, 0x3f3bfb3b, v85, -v120
	v_fma_f32 v73, 0xbf3bfb3b, v85, -v73
	v_mul_f32_e32 v85, v96, v112
	v_dual_mul_f32 v112, v84, v112 :: v_dual_fmac_f32 v99, 0xbee1c552, v74
	v_fma_f32 v115, 0xbf5ff5aa, v115, -v98
	v_mul_f32_e32 v126, v79, v106
	v_fma_f32 v104, v107, v72, -v104
	v_fmamk_f32 v72, v82, 0xbf955555, v36
	v_mul_f32_e32 v106, v83, v110
	v_fmac_f32_e32 v124, 0xbee1c552, v100
	v_fmac_f32_e32 v116, 0xbee1c552, v74
	v_fmamk_f32 v74, v77, 0xbf955555, v37
	v_fmamk_f32 v98, v125, 0xbeae86e6, v98
	v_mul_f32_e32 v110, v78, v110
	v_dual_fmac_f32 v108, v107, v75 :: v_dual_fmac_f32 v115, 0xbee1c552, v100
	v_fma_f32 v75, v105, v76, -v126
	v_mul_f32_e32 v82, v37, v102
	v_add_f32_e32 v77, v117, v72
	v_fma_f32 v105, v109, v78, -v106
	v_add_f32_e32 v78, v120, v72
	v_mul_f32_e32 v114, v80, v114
	v_add_f32_e32 v72, v73, v72
	v_add_f32_e32 v73, v121, v74
	v_dual_add_f32 v79, v122, v74 :: v_dual_fmac_f32 v98, 0xbee1c552, v100
	s_delay_alu instid0(VALU_DEP_4) | instskip(SKIP_1) | instid1(VALU_DEP_4)
	v_fmac_f32_e32 v114, v113, v81
	v_mul_f32_e32 v76, v36, v102
	v_dual_fmac_f32 v82, v36, v118 :: v_dual_sub_f32 v81, v73, v97
	v_add_f32_e32 v97, v97, v73
	v_add_f32_e32 v36, v98, v77
	v_sub_f32_e32 v98, v77, v98
	v_fmac_f32_e32 v110, v109, v83
	v_fma_f32 v83, v37, v118, -v76
	v_sub_f32_e32 v37, v78, v115
	v_mul_f32_e32 v73, v36, v101
	v_add_f32_e32 v102, v124, v72
	v_sub_f32_e32 v109, v72, v124
	v_dual_add_f32 v100, v116, v79 :: v_dual_sub_f32 v107, v79, v116
	v_fma_f32 v106, v111, v84, -v85
	s_delay_alu instid0(VALU_DEP_4) | instskip(SKIP_3) | instid1(VALU_DEP_4)
	v_dual_mul_f32 v77, v102, v108 :: v_dual_add_f32 v74, v95, v74
	v_add_f32_e32 v95, v115, v78
	v_fmac_f32_e32 v112, v111, v96
	v_fma_f32 v96, v113, v80, -v123
	v_dual_mul_f32 v84, v81, v101 :: v_dual_sub_f32 v79, v74, v99
	v_add_f32_e32 v99, v99, v74
	v_mul_f32_e32 v101, v37, v103
	v_dual_mul_f32 v78, v100, v103 :: v_dual_mul_f32 v103, v95, v110
	s_delay_alu instid0(VALU_DEP_4)
	v_mul_f32_e32 v80, v79, v108
	v_mul_f32_e32 v76, v107, v110
	;; [unrolled: 1-line block ×6, first 2 shown]
	v_fma_f32 v85, v81, v119, -v73
	v_fmac_f32_e32 v84, v36, v119
	v_fma_f32 v81, v79, v104, -v77
	v_fmac_f32_e32 v80, v102, v104
	;; [unrolled: 2-line block ×4, first 2 shown]
	v_fmac_f32_e32 v72, v109, v106
	v_fma_f32 v73, v99, v106, -v108
	v_fmac_f32_e32 v74, v98, v96
	v_fma_f32 v75, v97, v96, -v110
	s_wait_alu 0xfffe
	s_cbranch_vccnz .LBB0_14
; %bb.13:
	v_mad_co_u64_u32 v[36:37], null, s4, v88, 0
	v_mad_co_u64_u32 v[97:98], null, s8, v90, 0
	;; [unrolled: 1-line block ×3, first 2 shown]
	s_lshl_b64 s[0:1], s[6:7], 3
	v_add_nc_u32_e32 v106, 48, v89
	s_wait_loadcnt 0x12
	s_delay_alu instid0(VALU_DEP_4)
	v_mad_co_u64_u32 v[99:100], null, s5, v88, v[37:38]
	v_mad_co_u64_u32 v[100:101], null, s8, v91, 0
	v_mov_b32_e32 v37, v98
	v_mad_co_u64_u32 v[102:103], null, s9, v89, v[96:97]
	s_add_nc_u64 s[0:1], s[12:13], s[0:1]
	s_and_b32 s16, s2, exec_lo
	s_delay_alu instid0(VALU_DEP_3) | instskip(SKIP_1) | instid1(VALU_DEP_3)
	v_mov_b32_e32 v98, v101
	v_mad_co_u64_u32 v[103:104], null, s9, v90, v[37:38]
	v_dual_mov_b32 v37, v99 :: v_dual_mov_b32 v96, v102
	s_delay_alu instid0(VALU_DEP_3) | instskip(SKIP_1) | instid1(VALU_DEP_3)
	v_mad_co_u64_u32 v[101:102], null, s9, v91, v[98:99]
	v_mad_co_u64_u32 v[104:105], null, s8, v92, 0
	v_lshlrev_b64_e32 v[36:37], 3, v[36:37]
	s_delay_alu instid0(VALU_DEP_4) | instskip(SKIP_2) | instid1(VALU_DEP_4)
	v_lshlrev_b64_e32 v[95:96], 3, v[95:96]
	v_mov_b32_e32 v98, v103
	v_mad_co_u64_u32 v[102:103], null, s8, v94, 0
	v_add_co_u32 v36, vcc_lo, s0, v36
	s_wait_alu 0xfffd
	v_add_co_ci_u32_e32 v37, vcc_lo, s1, v37, vcc_lo
	v_lshlrev_b64_e32 v[97:98], 3, v[97:98]
	s_delay_alu instid0(VALU_DEP_3) | instskip(SKIP_1) | instid1(VALU_DEP_3)
	v_add_co_u32 v95, vcc_lo, v36, v95
	s_wait_alu 0xfffd
	v_add_co_ci_u32_e32 v96, vcc_lo, v37, v96, vcc_lo
	global_store_b64 v[95:96], v[82:83], off
	v_add_co_u32 v95, vcc_lo, v36, v97
	s_wait_alu 0xfffd
	v_add_co_ci_u32_e32 v96, vcc_lo, v37, v98, vcc_lo
	v_lshlrev_b64_e32 v[97:98], 3, v[100:101]
	v_mad_co_u64_u32 v[99:100], null, s8, v106, 0
	global_store_b64 v[95:96], v[84:85], off
	v_mov_b32_e32 v95, v103
	v_add_co_u32 v96, vcc_lo, v36, v97
	s_wait_alu 0xfffd
	v_add_co_ci_u32_e32 v97, vcc_lo, v37, v98, vcc_lo
	v_mov_b32_e32 v98, v100
	s_delay_alu instid0(VALU_DEP_3)
	v_mad_co_u64_u32 v[100:101], null, s9, v94, v[95:96]
	v_mov_b32_e32 v95, v105
	global_store_b64 v[96:97], v[80:81], off
	v_mov_b32_e32 v103, v100
	v_mad_co_u64_u32 v[106:107], null, s9, v106, v[98:99]
	v_mad_co_u64_u32 v[107:108], null, s8, v93, 0
	s_delay_alu instid0(VALU_DEP_3) | instskip(NEXT) | instid1(VALU_DEP_1)
	v_lshlrev_b64_e32 v[96:97], 3, v[102:103]
	v_mad_co_u64_u32 v[101:102], null, s9, v92, v[95:96]
	s_delay_alu instid0(VALU_DEP_4) | instskip(NEXT) | instid1(VALU_DEP_4)
	v_mov_b32_e32 v100, v106
	v_mov_b32_e32 v98, v108
	v_add_co_u32 v95, vcc_lo, v36, v96
	s_wait_alu 0xfffd
	v_add_co_ci_u32_e32 v96, vcc_lo, v37, v97, vcc_lo
	v_mov_b32_e32 v105, v101
	v_lshlrev_b64_e32 v[99:100], 3, v[99:100]
	global_store_b64 v[95:96], v[78:79], off
	v_lshlrev_b64_e32 v[95:96], 3, v[104:105]
	v_mad_co_u64_u32 v[102:103], null, s9, v93, v[98:99]
	v_add_co_u32 v97, vcc_lo, v36, v99
	s_wait_alu 0xfffd
	v_add_co_ci_u32_e32 v98, vcc_lo, v37, v100, vcc_lo
	s_delay_alu instid0(VALU_DEP_4) | instskip(NEXT) | instid1(VALU_DEP_4)
	v_add_co_u32 v95, vcc_lo, v36, v95
	v_mov_b32_e32 v108, v102
	global_store_b64 v[97:98], v[76:77], off
	s_wait_alu 0xfffd
	v_add_co_ci_u32_e32 v96, vcc_lo, v37, v96, vcc_lo
	v_lshlrev_b64_e32 v[97:98], 3, v[107:108]
	global_store_b64 v[95:96], v[72:73], off
	v_add_co_u32 v97, vcc_lo, v36, v97
	s_wait_alu 0xfffd
	v_add_co_ci_u32_e32 v98, vcc_lo, v37, v98, vcc_lo
	global_store_b64 v[97:98], v[74:75], off
	s_cbranch_execz .LBB0_15
	s_branch .LBB0_18
.LBB0_14:
                                        ; implicit-def: $vgpr36_vgpr37
.LBB0_15:
	s_mov_b32 s0, exec_lo
                                        ; implicit-def: $vgpr36_vgpr37
	v_cmpx_gt_u64_e64 s[10:11], v[20:21]
	s_cbranch_execz .LBB0_17
; %bb.16:
	v_mad_co_u64_u32 v[20:21], null, s4, v88, 0
	v_mad_co_u64_u32 v[95:96], null, s8, v90, 0
	;; [unrolled: 1-line block ×3, first 2 shown]
	s_wait_alu 0xfffe
	s_and_not1_b32 s1, s16, exec_lo
	s_and_b32 s2, s2, exec_lo
	s_delay_alu instid0(VALU_DEP_3) | instskip(SKIP_1) | instid1(VALU_DEP_4)
	v_mad_co_u64_u32 v[97:98], null, s5, v88, v[21:22]
	v_mad_co_u64_u32 v[98:99], null, s8, v91, 0
	v_mov_b32_e32 v21, v96
	s_wait_loadcnt 0x12
	v_mad_co_u64_u32 v[100:101], null, s9, v89, v[37:38]
	s_lshl_b64 s[4:5], s[6:7], 3
	s_wait_alu 0xfffe
	s_or_b32 s16, s1, s2
	s_add_nc_u64 s[4:5], s[12:13], s[4:5]
	v_mov_b32_e32 v88, v99
	v_mad_co_u64_u32 v[101:102], null, s9, v90, v[21:22]
	v_mov_b32_e32 v21, v97
	v_mov_b32_e32 v37, v100
	v_add_nc_u32_e32 v97, 48, v89
	v_mad_co_u64_u32 v[90:91], null, s9, v91, v[88:89]
	v_mov_b32_e32 v96, v101
	v_lshlrev_b64_e32 v[20:21], 3, v[20:21]
	v_lshlrev_b64_e32 v[99:100], 3, v[36:37]
	v_mad_co_u64_u32 v[88:89], null, s8, v97, 0
	s_wait_alu 0xfffe
	s_delay_alu instid0(VALU_DEP_3) | instskip(SKIP_3) | instid1(VALU_DEP_3)
	v_add_co_u32 v36, vcc_lo, s4, v20
	s_wait_alu 0xfffd
	v_add_co_ci_u32_e32 v37, vcc_lo, s5, v21, vcc_lo
	v_lshlrev_b64_e32 v[20:21], 3, v[95:96]
	v_add_co_u32 v95, vcc_lo, v36, v99
	s_wait_alu 0xfffd
	s_delay_alu instid0(VALU_DEP_3) | instskip(SKIP_1) | instid1(VALU_DEP_4)
	v_add_co_ci_u32_e32 v96, vcc_lo, v37, v100, vcc_lo
	v_mad_co_u64_u32 v[100:101], null, s8, v94, 0
	v_add_co_u32 v20, vcc_lo, v36, v20
	s_wait_alu 0xfffd
	v_add_co_ci_u32_e32 v21, vcc_lo, v37, v21, vcc_lo
	v_mov_b32_e32 v99, v90
	global_store_b64 v[95:96], v[82:83], off
	v_mad_co_u64_u32 v[90:91], null, s8, v92, 0
	global_store_b64 v[20:21], v[84:85], off
	v_dual_mov_b32 v20, v101 :: v_dual_mov_b32 v21, v89
	v_lshlrev_b64_e32 v[82:83], 3, v[98:99]
	s_delay_alu instid0(VALU_DEP_2) | instskip(SKIP_2) | instid1(VALU_DEP_4)
	v_mad_co_u64_u32 v[84:85], null, s9, v94, v[20:21]
	v_mad_co_u64_u32 v[20:21], null, s9, v97, v[21:22]
	v_mad_co_u64_u32 v[94:95], null, s8, v93, 0
	v_add_co_u32 v82, vcc_lo, v36, v82
	s_wait_alu 0xfffd
	v_add_co_ci_u32_e32 v83, vcc_lo, v37, v83, vcc_lo
	v_mov_b32_e32 v101, v84
	v_mov_b32_e32 v21, v91
	v_dual_mov_b32 v89, v20 :: v_dual_mov_b32 v20, v95
	global_store_b64 v[82:83], v[80:81], off
	v_lshlrev_b64_e32 v[80:81], 3, v[100:101]
	v_mad_co_u64_u32 v[82:83], null, s9, v92, v[21:22]
	v_lshlrev_b64_e32 v[83:84], 3, v[88:89]
	v_mad_co_u64_u32 v[20:21], null, s9, v93, v[20:21]
	s_delay_alu instid0(VALU_DEP_4)
	v_add_co_u32 v80, vcc_lo, v36, v80
	s_wait_alu 0xfffd
	v_add_co_ci_u32_e32 v81, vcc_lo, v37, v81, vcc_lo
	v_mov_b32_e32 v91, v82
	v_add_co_u32 v82, vcc_lo, v36, v83
	s_wait_alu 0xfffd
	v_add_co_ci_u32_e32 v83, vcc_lo, v37, v84, vcc_lo
	v_mov_b32_e32 v95, v20
	v_lshlrev_b64_e32 v[20:21], 3, v[90:91]
	s_clause 0x1
	global_store_b64 v[80:81], v[78:79], off
	global_store_b64 v[82:83], v[76:77], off
	v_lshlrev_b64_e32 v[76:77], 3, v[94:95]
	v_add_co_u32 v20, vcc_lo, v36, v20
	s_wait_alu 0xfffd
	v_add_co_ci_u32_e32 v21, vcc_lo, v37, v21, vcc_lo
	s_delay_alu instid0(VALU_DEP_3)
	v_add_co_u32 v76, vcc_lo, v36, v76
	s_wait_alu 0xfffd
	v_add_co_ci_u32_e32 v77, vcc_lo, v37, v77, vcc_lo
	s_clause 0x1
	global_store_b64 v[20:21], v[72:73], off
	global_store_b64 v[76:77], v[74:75], off
.LBB0_17:
	s_wait_alu 0xfffe
	s_or_b32 exec_lo, exec_lo, s0
.LBB0_18:
	s_wait_alu 0xfffe
	s_and_saveexec_b32 s0, s16
	s_cbranch_execnz .LBB0_20
; %bb.19:
	s_nop 0
	s_sendmsg sendmsg(MSG_DEALLOC_VGPRS)
	s_endpgm
.LBB0_20:
	v_dual_mul_f32 v20, v31, v9 :: v_dual_mul_f32 v21, v25, v11
	v_mul_f32_e32 v11, v24, v11
	v_mul_f32_e32 v9, v30, v9
	s_delay_alu instid0(VALU_DEP_3) | instskip(NEXT) | instid1(VALU_DEP_4)
	v_fmac_f32_e32 v20, v30, v8
	v_dual_mul_f32 v30, v27, v7 :: v_dual_fmac_f32 v21, v24, v10
	s_delay_alu instid0(VALU_DEP_4) | instskip(SKIP_4) | instid1(VALU_DEP_4)
	v_fma_f32 v10, v25, v10, -v11
	v_mul_f32_e32 v11, v33, v1
	v_mul_f32_e32 v1, v32, v1
	v_fma_f32 v8, v31, v8, -v9
	v_dual_mul_f32 v9, v29, v5 :: v_dual_fmac_f32 v30, v26, v6
	v_fmac_f32_e32 v11, v32, v0
	s_delay_alu instid0(VALU_DEP_4) | instskip(SKIP_1) | instid1(VALU_DEP_4)
	v_fma_f32 v0, v33, v0, -v1
	v_mul_f32_e32 v5, v28, v5
	v_fmac_f32_e32 v9, v28, v4
	v_mul_f32_e32 v7, v26, v7
	s_delay_alu instid0(VALU_DEP_3) | instskip(SKIP_2) | instid1(VALU_DEP_2)
	v_fma_f32 v4, v29, v4, -v5
	v_mul_f32_e32 v5, v35, v3
	v_mul_f32_e32 v3, v34, v3
	v_fmac_f32_e32 v5, v34, v2
	s_delay_alu instid0(VALU_DEP_2) | instskip(SKIP_1) | instid1(VALU_DEP_3)
	v_fma_f32 v2, v35, v2, -v3
	v_fma_f32 v3, v27, v6, -v7
	v_add_f32_e32 v1, v20, v5
	s_delay_alu instid0(VALU_DEP_3) | instskip(SKIP_3) | instid1(VALU_DEP_1)
	v_add_f32_e32 v6, v8, v2
	v_sub_f32_e32 v2, v8, v2
	v_add_f32_e32 v8, v10, v0
	v_dual_sub_f32 v0, v10, v0 :: v_dual_add_f32 v7, v21, v11
	v_dual_sub_f32 v25, v8, v6 :: v_dual_sub_f32 v24, v7, v1
	v_sub_f32_e32 v5, v20, v5
	v_dual_add_f32 v20, v4, v3 :: v_dual_sub_f32 v3, v3, v4
	s_delay_alu instid0(VALU_DEP_1) | instskip(SKIP_2) | instid1(VALU_DEP_3)
	v_add_f32_e32 v27, v3, v0
	v_sub_f32_e32 v29, v3, v0
	v_dual_sub_f32 v3, v2, v3 :: v_dual_sub_f32 v0, v0, v2
	v_dual_add_f32 v2, v27, v2 :: v_dual_sub_f32 v11, v21, v11
	v_add_f32_e32 v21, v8, v6
	v_sub_f32_e32 v8, v20, v8
	v_add_f32_e32 v4, v7, v1
	v_add_f32_e32 v10, v9, v30
	v_sub_f32_e32 v6, v6, v20
	v_sub_f32_e32 v9, v30, v9
	s_delay_alu instid0(VALU_DEP_3) | instskip(NEXT) | instid1(VALU_DEP_3)
	v_add_f32_e32 v4, v10, v4
	v_dual_mul_f32 v6, 0x3f4a47b2, v6 :: v_dual_sub_f32 v7, v10, v7
	s_delay_alu instid0(VALU_DEP_3) | instskip(SKIP_3) | instid1(VALU_DEP_1)
	v_add_f32_e32 v26, v9, v11
	v_sub_f32_e32 v28, v9, v11
	v_dual_sub_f32 v1, v1, v10 :: v_dual_add_f32 v10, v20, v21
	v_add_f32_e32 v20, v22, v4
	v_fmamk_f32 v4, v4, 0xbf955555, v20
	v_mul_f32_e32 v22, 0x3d64c772, v7
	s_delay_alu instid0(VALU_DEP_1) | instskip(SKIP_3) | instid1(VALU_DEP_4)
	v_fma_f32 v22, 0x3f3bfb3b, v24, -v22
	v_add_f32_e32 v21, v23, v10
	v_dual_mul_f32 v23, 0x3d64c772, v8 :: v_dual_fmamk_f32 v8, v8, 0x3d64c772, v6
	v_fma_f32 v6, 0xbf3bfb3b, v25, -v6
	v_dual_add_f32 v22, v22, v4 :: v_dual_sub_f32 v9, v5, v9
	s_delay_alu instid0(VALU_DEP_4) | instskip(SKIP_1) | instid1(VALU_DEP_2)
	v_dual_fmamk_f32 v10, v10, 0xbf955555, v21 :: v_dual_sub_f32 v11, v11, v5
	v_dual_add_f32 v5, v26, v5 :: v_dual_mul_f32 v26, 0x3f08b237, v28
	v_dual_mul_f32 v1, 0x3f4a47b2, v1 :: v_dual_add_f32 v8, v8, v10
	v_fma_f32 v23, 0x3f3bfb3b, v25, -v23
	s_delay_alu instid0(VALU_DEP_2)
	v_fmamk_f32 v7, v7, 0x3d64c772, v1
	v_fma_f32 v1, 0xbf3bfb3b, v24, -v1
	v_fmamk_f32 v24, v9, 0xbeae86e6, v26
	v_mul_f32_e32 v28, 0xbf5ff5aa, v11
	v_fma_f32 v11, 0xbf5ff5aa, v11, -v26
	v_add_f32_e32 v7, v7, v4
	s_delay_alu instid0(VALU_DEP_4) | instskip(SKIP_3) | instid1(VALU_DEP_4)
	v_dual_add_f32 v1, v1, v4 :: v_dual_fmac_f32 v24, 0xbee1c552, v5
	v_mul_f32_e32 v27, 0x3f08b237, v29
	v_fma_f32 v9, 0x3eae86e6, v9, -v28
	v_add_f32_e32 v4, v6, v10
	v_dual_add_f32 v23, v23, v10 :: v_dual_sub_f32 v6, v8, v24
	s_delay_alu instid0(VALU_DEP_3)
	v_dual_add_f32 v24, v24, v8 :: v_dual_fmac_f32 v9, 0xbee1c552, v5
	v_mul_f32_e32 v29, 0xbf5ff5aa, v0
	v_fma_f32 v0, 0xbf5ff5aa, v0, -v27
	s_wait_loadcnt 0xd
	v_dual_fmamk_f32 v25, v3, 0xbeae86e6, v27 :: v_dual_mul_f32 v8, v13, v15
	v_sub_f32_e32 v26, v4, v9
	v_fma_f32 v3, 0x3eae86e6, v3, -v29
	v_dual_fmac_f32 v0, 0xbee1c552, v2 :: v_dual_add_f32 v29, v9, v4
	s_delay_alu instid0(VALU_DEP_1) | instskip(SKIP_1) | instid1(VALU_DEP_1)
	v_dual_sub_f32 v27, v22, v0 :: v_dual_add_f32 v22, v0, v22
	v_mul_f32_e32 v0, v41, v43
	v_fma_f32 v0, v40, v42, -v0
	s_delay_alu instid0(VALU_DEP_1) | instskip(SKIP_2) | instid1(VALU_DEP_3)
	v_dual_fmac_f32 v11, 0xbee1c552, v5 :: v_dual_mul_f32 v4, v0, v39
	v_fmac_f32_e32 v25, 0xbee1c552, v2
	v_dual_fmac_f32 v3, 0xbee1c552, v2 :: v_dual_mul_f32 v2, v17, v49
	v_add_f32_e32 v28, v11, v23
	v_sub_f32_e32 v11, v23, v11
	s_delay_alu instid0(VALU_DEP_3) | instskip(SKIP_3) | instid1(VALU_DEP_3)
	v_dual_add_f32 v10, v3, v1 :: v_dual_sub_f32 v23, v1, v3
	v_mul_f32_e32 v3, v16, v49
	v_fma_f32 v2, v16, v48, -v2
	v_mul_f32_e32 v15, v12, v15
	v_fmac_f32_e32 v3, v17, v48
	s_delay_alu instid0(VALU_DEP_3) | instskip(NEXT) | instid1(VALU_DEP_3)
	v_mul_f32_e32 v9, v2, v19
	v_fmac_f32_e32 v15, v13, v14
	s_delay_alu instid0(VALU_DEP_2)
	v_fmac_f32_e32 v9, v18, v3
	v_add_f32_e32 v5, v25, v7
	v_mul_f32_e32 v1, v40, v43
	v_sub_f32_e32 v25, v7, v25
	s_wait_loadcnt 0xc
	v_mul_f32_e32 v13, v15, v51
	s_delay_alu instid0(VALU_DEP_3) | instskip(NEXT) | instid1(VALU_DEP_1)
	v_fmac_f32_e32 v1, v41, v42
	v_dual_mul_f32 v7, v1, v39 :: v_dual_fmac_f32 v4, v38, v1
	v_mul_f32_e32 v1, v3, v19
	s_delay_alu instid0(VALU_DEP_2) | instskip(NEXT) | instid1(VALU_DEP_3)
	v_fma_f32 v7, v38, v0, -v7
	v_mul_f32_e32 v3, v20, v4
	v_mul_f32_e32 v0, v21, v4
	s_delay_alu instid0(VALU_DEP_4) | instskip(SKIP_1) | instid1(VALU_DEP_4)
	v_fma_f32 v4, v18, v2, -v1
	v_mul_f32_e32 v2, v6, v9
	v_fma_f32 v1, v21, v7, -v3
	s_wait_loadcnt 0xa
	v_mul_f32_e32 v3, v57, v71
	v_fmac_f32_e32 v0, v20, v7
	v_fma_f32 v7, v12, v14, -v8
	v_fmac_f32_e32 v2, v5, v4
	v_mul_f32_e32 v5, v5, v9
	v_mul_f32_e32 v9, v56, v71
	v_fma_f32 v12, v56, v70, -v3
	v_mul_f32_e32 v8, v7, v51
	s_wait_loadcnt 0x1
	v_mul_f32_e32 v21, v46, v55
	v_fma_f32 v3, v6, v4, -v5
	v_dual_fmac_f32 v9, v57, v70 :: v_dual_mul_f32 v14, v12, v65
	v_fma_f32 v5, v50, v7, -v13
	v_mul_f32_e32 v6, v67, v69
	v_fmac_f32_e32 v21, v47, v54
	s_delay_alu instid0(VALU_DEP_4) | instskip(SKIP_3) | instid1(VALU_DEP_4)
	v_mul_f32_e32 v7, v9, v65
	v_fmac_f32_e32 v14, v64, v9
	v_mul_f32_e32 v9, v66, v69
	v_fma_f32 v13, v66, v68, -v6
	v_fma_f32 v7, v64, v12, -v7
	s_delay_alu instid0(VALU_DEP_4) | instskip(NEXT) | instid1(VALU_DEP_3)
	v_mul_f32_e32 v6, v28, v14
	v_mul_f32_e32 v12, v13, v59
	s_delay_alu instid0(VALU_DEP_2) | instskip(SKIP_1) | instid1(VALU_DEP_1)
	v_fmac_f32_e32 v6, v27, v7
	v_fmac_f32_e32 v8, v50, v15
	v_mul_f32_e32 v4, v26, v8
	v_mul_f32_e32 v8, v10, v8
	s_delay_alu instid0(VALU_DEP_2) | instskip(SKIP_1) | instid1(VALU_DEP_3)
	v_fmac_f32_e32 v4, v10, v5
	v_dual_mul_f32 v10, v61, v63 :: v_dual_fmac_f32 v9, v67, v68
	v_fma_f32 v5, v26, v5, -v8
	s_delay_alu instid0(VALU_DEP_2) | instskip(NEXT) | instid1(VALU_DEP_3)
	v_fma_f32 v15, v60, v62, -v10
	v_mul_f32_e32 v8, v9, v59
	v_dual_fmac_f32 v12, v58, v9 :: v_dual_mul_f32 v9, v27, v14
	v_mul_f32_e32 v14, v60, v63
	s_delay_alu instid0(VALU_DEP_3) | instskip(NEXT) | instid1(VALU_DEP_3)
	v_fma_f32 v13, v58, v13, -v8
	v_mul_f32_e32 v8, v11, v12
	v_mul_f32_e32 v12, v22, v12
	s_delay_alu instid0(VALU_DEP_4) | instskip(SKIP_1) | instid1(VALU_DEP_4)
	v_fmac_f32_e32 v14, v61, v62
	v_fma_f32 v7, v28, v7, -v9
	v_fmac_f32_e32 v8, v22, v13
	s_delay_alu instid0(VALU_DEP_4) | instskip(NEXT) | instid1(VALU_DEP_4)
	v_fma_f32 v9, v11, v13, -v12
	v_dual_mul_f32 v13, v47, v55 :: v_dual_mul_f32 v12, v14, v53
	v_mad_co_u64_u32 v[10:11], null, s8, v87, 0
	s_delay_alu instid0(VALU_DEP_2) | instskip(SKIP_1) | instid1(VALU_DEP_4)
	v_fma_f32 v20, v46, v54, -v13
	v_add_nc_u32_e32 v19, 19, v86
	v_fma_f32 v18, v52, v15, -v12
	s_wait_loadcnt 0x0
	s_delay_alu instid0(VALU_DEP_3) | instskip(NEXT) | instid1(VALU_DEP_3)
	v_mul_f32_e32 v22, v20, v45
	v_mad_co_u64_u32 v[12:13], null, s8, v19, 0
	s_delay_alu instid0(VALU_DEP_2) | instskip(SKIP_1) | instid1(VALU_DEP_3)
	v_fmac_f32_e32 v22, v44, v21
	v_mul_f32_e32 v17, v15, v53
	v_mad_co_u64_u32 v[15:16], null, s9, v87, v[11:12]
	s_delay_alu instid0(VALU_DEP_2) | instskip(SKIP_1) | instid1(VALU_DEP_2)
	v_fmac_f32_e32 v17, v52, v14
	v_mov_b32_e32 v11, v13
	v_mul_f32_e32 v14, v29, v17
	v_mul_f32_e32 v13, v23, v17
	s_delay_alu instid0(VALU_DEP_3) | instskip(SKIP_1) | instid1(VALU_DEP_4)
	v_mad_co_u64_u32 v[16:17], null, s9, v19, v[11:12]
	v_mov_b32_e32 v11, v15
	v_dual_fmac_f32 v14, v23, v18 :: v_dual_mul_f32 v23, v21, v45
	v_add_nc_u32_e32 v21, 31, v86
	v_fma_f32 v15, v29, v18, -v13
	s_delay_alu instid0(VALU_DEP_4)
	v_lshlrev_b64_e32 v[10:11], 3, v[10:11]
	v_mov_b32_e32 v13, v16
	v_fma_f32 v18, v44, v20, -v23
	v_mad_co_u64_u32 v[19:20], null, s8, v21, 0
	v_add_nc_u32_e32 v16, 43, v86
	v_add_co_u32 v10, vcc_lo, v36, v10
	s_wait_alu 0xfffd
	v_add_co_ci_u32_e32 v11, vcc_lo, v37, v11, vcc_lo
	v_lshlrev_b64_e32 v[12:13], 3, v[12:13]
	v_add_nc_u32_e32 v23, 55, v86
	v_mul_f32_e32 v17, v24, v22
	global_store_b64 v[10:11], v[0:1], off
	v_mov_b32_e32 v0, v20
	v_mul_f32_e32 v22, v25, v22
	v_add_co_u32 v10, vcc_lo, v36, v12
	s_wait_alu 0xfffd
	v_add_co_ci_u32_e32 v11, vcc_lo, v37, v13, vcc_lo
	v_mad_co_u64_u32 v[0:1], null, s9, v21, v[0:1]
	v_mad_co_u64_u32 v[12:13], null, s8, v16, 0
	global_store_b64 v[10:11], v[2:3], off
	v_mad_co_u64_u32 v[1:2], null, s8, v23, 0
	v_fmac_f32_e32 v17, v25, v18
	v_fma_f32 v18, v24, v18, -v22
	v_add_nc_u32_e32 v24, 0x43, v86
	v_mov_b32_e32 v20, v0
	v_mov_b32_e32 v0, v13
	v_mad_co_u64_u32 v[2:3], null, s9, v23, v[2:3]
	s_delay_alu instid0(VALU_DEP_4) | instskip(NEXT) | instid1(VALU_DEP_3)
	v_mad_co_u64_u32 v[10:11], null, s8, v24, 0
	v_mad_co_u64_u32 v[21:22], null, s9, v16, v[0:1]
	v_add_nc_u32_e32 v16, 0x4f, v86
	v_lshlrev_b64_e32 v[19:20], 3, v[19:20]
	s_delay_alu instid0(VALU_DEP_4) | instskip(NEXT) | instid1(VALU_DEP_3)
	v_mov_b32_e32 v0, v11
	v_mad_co_u64_u32 v[22:23], null, s8, v16, 0
	s_delay_alu instid0(VALU_DEP_3) | instskip(NEXT) | instid1(VALU_DEP_3)
	v_add_co_u32 v19, vcc_lo, v36, v19
	v_mad_co_u64_u32 v[24:25], null, s9, v24, v[0:1]
	v_lshlrev_b64_e32 v[1:2], 3, v[1:2]
	s_wait_alu 0xfffd
	v_add_co_ci_u32_e32 v20, vcc_lo, v37, v20, vcc_lo
	v_dual_mov_b32 v13, v21 :: v_dual_mov_b32 v0, v23
	global_store_b64 v[19:20], v[4:5], off
	v_mov_b32_e32 v11, v24
	v_lshlrev_b64_e32 v[3:4], 3, v[12:13]
	v_mad_co_u64_u32 v[12:13], null, s9, v16, v[0:1]
	s_delay_alu instid0(VALU_DEP_3) | instskip(NEXT) | instid1(VALU_DEP_3)
	v_lshlrev_b64_e32 v[10:11], 3, v[10:11]
	v_add_co_u32 v3, vcc_lo, v36, v3
	s_wait_alu 0xfffd
	s_delay_alu instid0(VALU_DEP_4) | instskip(NEXT) | instid1(VALU_DEP_4)
	v_add_co_ci_u32_e32 v4, vcc_lo, v37, v4, vcc_lo
	v_mov_b32_e32 v23, v12
	v_add_co_u32 v0, vcc_lo, v36, v1
	s_wait_alu 0xfffd
	v_add_co_ci_u32_e32 v1, vcc_lo, v37, v2, vcc_lo
	s_delay_alu instid0(VALU_DEP_3) | instskip(SKIP_3) | instid1(VALU_DEP_3)
	v_lshlrev_b64_e32 v[12:13], 3, v[22:23]
	v_add_co_u32 v10, vcc_lo, v36, v10
	s_wait_alu 0xfffd
	v_add_co_ci_u32_e32 v11, vcc_lo, v37, v11, vcc_lo
	v_add_co_u32 v12, vcc_lo, v36, v12
	s_wait_alu 0xfffd
	v_add_co_ci_u32_e32 v13, vcc_lo, v37, v13, vcc_lo
	s_clause 0x3
	global_store_b64 v[3:4], v[6:7], off
	global_store_b64 v[0:1], v[8:9], off
	;; [unrolled: 1-line block ×4, first 2 shown]
	s_nop 0
	s_sendmsg sendmsg(MSG_DEALLOC_VGPRS)
	s_endpgm
	.section	.rodata,"a",@progbits
	.p2align	6, 0x0
	.amdhsa_kernel fft_rtc_back_len84_factors_2_6_7_wgs_189_tpt_7_dim2_sp_ip_CI_sbcc_twdbase8_3step_dirReg
		.amdhsa_group_segment_fixed_size 0
		.amdhsa_private_segment_fixed_size 0
		.amdhsa_kernarg_size 88
		.amdhsa_user_sgpr_count 2
		.amdhsa_user_sgpr_dispatch_ptr 0
		.amdhsa_user_sgpr_queue_ptr 0
		.amdhsa_user_sgpr_kernarg_segment_ptr 1
		.amdhsa_user_sgpr_dispatch_id 0
		.amdhsa_user_sgpr_private_segment_size 0
		.amdhsa_wavefront_size32 1
		.amdhsa_uses_dynamic_stack 0
		.amdhsa_enable_private_segment 0
		.amdhsa_system_sgpr_workgroup_id_x 1
		.amdhsa_system_sgpr_workgroup_id_y 0
		.amdhsa_system_sgpr_workgroup_id_z 0
		.amdhsa_system_sgpr_workgroup_info 0
		.amdhsa_system_vgpr_workitem_id 0
		.amdhsa_next_free_vgpr 139
		.amdhsa_next_free_sgpr 24
		.amdhsa_reserve_vcc 1
		.amdhsa_float_round_mode_32 0
		.amdhsa_float_round_mode_16_64 0
		.amdhsa_float_denorm_mode_32 3
		.amdhsa_float_denorm_mode_16_64 3
		.amdhsa_fp16_overflow 0
		.amdhsa_workgroup_processor_mode 1
		.amdhsa_memory_ordered 1
		.amdhsa_forward_progress 0
		.amdhsa_round_robin_scheduling 0
		.amdhsa_exception_fp_ieee_invalid_op 0
		.amdhsa_exception_fp_denorm_src 0
		.amdhsa_exception_fp_ieee_div_zero 0
		.amdhsa_exception_fp_ieee_overflow 0
		.amdhsa_exception_fp_ieee_underflow 0
		.amdhsa_exception_fp_ieee_inexact 0
		.amdhsa_exception_int_div_zero 0
	.end_amdhsa_kernel
	.text
.Lfunc_end0:
	.size	fft_rtc_back_len84_factors_2_6_7_wgs_189_tpt_7_dim2_sp_ip_CI_sbcc_twdbase8_3step_dirReg, .Lfunc_end0-fft_rtc_back_len84_factors_2_6_7_wgs_189_tpt_7_dim2_sp_ip_CI_sbcc_twdbase8_3step_dirReg
                                        ; -- End function
	.section	.AMDGPU.csdata,"",@progbits
; Kernel info:
; codeLenInByte = 9340
; NumSgprs: 26
; NumVgprs: 139
; ScratchSize: 0
; MemoryBound: 0
; FloatMode: 240
; IeeeMode: 1
; LDSByteSize: 0 bytes/workgroup (compile time only)
; SGPRBlocks: 3
; VGPRBlocks: 17
; NumSGPRsForWavesPerEU: 26
; NumVGPRsForWavesPerEU: 139
; Occupancy: 10
; WaveLimiterHint : 1
; COMPUTE_PGM_RSRC2:SCRATCH_EN: 0
; COMPUTE_PGM_RSRC2:USER_SGPR: 2
; COMPUTE_PGM_RSRC2:TRAP_HANDLER: 0
; COMPUTE_PGM_RSRC2:TGID_X_EN: 1
; COMPUTE_PGM_RSRC2:TGID_Y_EN: 0
; COMPUTE_PGM_RSRC2:TGID_Z_EN: 0
; COMPUTE_PGM_RSRC2:TIDIG_COMP_CNT: 0
	.text
	.p2alignl 7, 3214868480
	.fill 96, 4, 3214868480
	.type	__hip_cuid_68bd5cf329e1aa90,@object ; @__hip_cuid_68bd5cf329e1aa90
	.section	.bss,"aw",@nobits
	.globl	__hip_cuid_68bd5cf329e1aa90
__hip_cuid_68bd5cf329e1aa90:
	.byte	0                               ; 0x0
	.size	__hip_cuid_68bd5cf329e1aa90, 1

	.ident	"AMD clang version 19.0.0git (https://github.com/RadeonOpenCompute/llvm-project roc-6.4.0 25133 c7fe45cf4b819c5991fe208aaa96edf142730f1d)"
	.section	".note.GNU-stack","",@progbits
	.addrsig
	.addrsig_sym __hip_cuid_68bd5cf329e1aa90
	.amdgpu_metadata
---
amdhsa.kernels:
  - .args:
      - .actual_access:  read_only
        .address_space:  global
        .offset:         0
        .size:           8
        .value_kind:     global_buffer
      - .address_space:  global
        .offset:         8
        .size:           8
        .value_kind:     global_buffer
      - .actual_access:  read_only
        .address_space:  global
        .offset:         16
        .size:           8
        .value_kind:     global_buffer
      - .actual_access:  read_only
        .address_space:  global
        .offset:         24
        .size:           8
        .value_kind:     global_buffer
      - .offset:         32
        .size:           8
        .value_kind:     by_value
      - .actual_access:  read_only
        .address_space:  global
        .offset:         40
        .size:           8
        .value_kind:     global_buffer
      - .actual_access:  read_only
        .address_space:  global
        .offset:         48
        .size:           8
        .value_kind:     global_buffer
      - .offset:         56
        .size:           4
        .value_kind:     by_value
      - .actual_access:  read_only
        .address_space:  global
        .offset:         64
        .size:           8
        .value_kind:     global_buffer
      - .actual_access:  read_only
        .address_space:  global
        .offset:         72
        .size:           8
        .value_kind:     global_buffer
      - .address_space:  global
        .offset:         80
        .size:           8
        .value_kind:     global_buffer
    .group_segment_fixed_size: 0
    .kernarg_segment_align: 8
    .kernarg_segment_size: 88
    .language:       OpenCL C
    .language_version:
      - 2
      - 0
    .max_flat_workgroup_size: 189
    .name:           fft_rtc_back_len84_factors_2_6_7_wgs_189_tpt_7_dim2_sp_ip_CI_sbcc_twdbase8_3step_dirReg
    .private_segment_fixed_size: 0
    .sgpr_count:     26
    .sgpr_spill_count: 0
    .symbol:         fft_rtc_back_len84_factors_2_6_7_wgs_189_tpt_7_dim2_sp_ip_CI_sbcc_twdbase8_3step_dirReg.kd
    .uniform_work_group_size: 1
    .uses_dynamic_stack: false
    .vgpr_count:     139
    .vgpr_spill_count: 0
    .wavefront_size: 32
    .workgroup_processor_mode: 1
amdhsa.target:   amdgcn-amd-amdhsa--gfx1201
amdhsa.version:
  - 1
  - 2
...

	.end_amdgpu_metadata
